;; amdgpu-corpus repo=ROCm/rocSOLVER kind=compiled arch=gfx1250 opt=O3
	.amdgcn_target "amdgcn-amd-amdhsa--gfx1250"
	.amdhsa_code_object_version 6
	.section	.text._ZN9rocsolver6v33100L6iota_nIfEEvPT_jS2_,"axG",@progbits,_ZN9rocsolver6v33100L6iota_nIfEEvPT_jS2_,comdat
	.globl	_ZN9rocsolver6v33100L6iota_nIfEEvPT_jS2_ ; -- Begin function _ZN9rocsolver6v33100L6iota_nIfEEvPT_jS2_
	.p2align	8
	.type	_ZN9rocsolver6v33100L6iota_nIfEEvPT_jS2_,@function
_ZN9rocsolver6v33100L6iota_nIfEEvPT_jS2_: ; @_ZN9rocsolver6v33100L6iota_nIfEEvPT_jS2_
; %bb.0:
	s_load_b64 s[2:3], s[0:1], 0x8
	s_wait_kmcnt 0x0
	v_cmp_gt_u32_e32 vcc_lo, s2, v0
	s_and_saveexec_b32 s2, vcc_lo
	s_cbranch_execz .LBB0_2
; %bb.1:
	s_load_b64 s[0:1], s[0:1], 0x0
	v_cvt_f32_ubyte0_e32 v1, v0
	s_delay_alu instid0(VALU_DEP_1)
	v_add_f32_e32 v1, s3, v1
	s_wait_kmcnt 0x0
	global_store_b32 v0, v1, s[0:1] scale_offset
.LBB0_2:
	s_endpgm
	.section	.rodata,"a",@progbits
	.p2align	6, 0x0
	.amdhsa_kernel _ZN9rocsolver6v33100L6iota_nIfEEvPT_jS2_
		.amdhsa_group_segment_fixed_size 0
		.amdhsa_private_segment_fixed_size 0
		.amdhsa_kernarg_size 16
		.amdhsa_user_sgpr_count 2
		.amdhsa_user_sgpr_dispatch_ptr 0
		.amdhsa_user_sgpr_queue_ptr 0
		.amdhsa_user_sgpr_kernarg_segment_ptr 1
		.amdhsa_user_sgpr_dispatch_id 0
		.amdhsa_user_sgpr_kernarg_preload_length 0
		.amdhsa_user_sgpr_kernarg_preload_offset 0
		.amdhsa_user_sgpr_private_segment_size 0
		.amdhsa_wavefront_size32 1
		.amdhsa_uses_dynamic_stack 0
		.amdhsa_enable_private_segment 0
		.amdhsa_system_sgpr_workgroup_id_x 1
		.amdhsa_system_sgpr_workgroup_id_y 0
		.amdhsa_system_sgpr_workgroup_id_z 0
		.amdhsa_system_sgpr_workgroup_info 0
		.amdhsa_system_vgpr_workitem_id 0
		.amdhsa_next_free_vgpr 2
		.amdhsa_next_free_sgpr 4
		.amdhsa_named_barrier_count 0
		.amdhsa_reserve_vcc 1
		.amdhsa_float_round_mode_32 0
		.amdhsa_float_round_mode_16_64 0
		.amdhsa_float_denorm_mode_32 3
		.amdhsa_float_denorm_mode_16_64 3
		.amdhsa_fp16_overflow 0
		.amdhsa_memory_ordered 1
		.amdhsa_forward_progress 1
		.amdhsa_inst_pref_size 1
		.amdhsa_round_robin_scheduling 0
		.amdhsa_exception_fp_ieee_invalid_op 0
		.amdhsa_exception_fp_denorm_src 0
		.amdhsa_exception_fp_ieee_div_zero 0
		.amdhsa_exception_fp_ieee_overflow 0
		.amdhsa_exception_fp_ieee_underflow 0
		.amdhsa_exception_fp_ieee_inexact 0
		.amdhsa_exception_int_div_zero 0
	.end_amdhsa_kernel
	.section	.text._ZN9rocsolver6v33100L6iota_nIfEEvPT_jS2_,"axG",@progbits,_ZN9rocsolver6v33100L6iota_nIfEEvPT_jS2_,comdat
.Lfunc_end0:
	.size	_ZN9rocsolver6v33100L6iota_nIfEEvPT_jS2_, .Lfunc_end0-_ZN9rocsolver6v33100L6iota_nIfEEvPT_jS2_
                                        ; -- End function
	.set _ZN9rocsolver6v33100L6iota_nIfEEvPT_jS2_.num_vgpr, 2
	.set _ZN9rocsolver6v33100L6iota_nIfEEvPT_jS2_.num_agpr, 0
	.set _ZN9rocsolver6v33100L6iota_nIfEEvPT_jS2_.numbered_sgpr, 4
	.set _ZN9rocsolver6v33100L6iota_nIfEEvPT_jS2_.num_named_barrier, 0
	.set _ZN9rocsolver6v33100L6iota_nIfEEvPT_jS2_.private_seg_size, 0
	.set _ZN9rocsolver6v33100L6iota_nIfEEvPT_jS2_.uses_vcc, 1
	.set _ZN9rocsolver6v33100L6iota_nIfEEvPT_jS2_.uses_flat_scratch, 0
	.set _ZN9rocsolver6v33100L6iota_nIfEEvPT_jS2_.has_dyn_sized_stack, 0
	.set _ZN9rocsolver6v33100L6iota_nIfEEvPT_jS2_.has_recursion, 0
	.set _ZN9rocsolver6v33100L6iota_nIfEEvPT_jS2_.has_indirect_call, 0
	.section	.AMDGPU.csdata,"",@progbits
; Kernel info:
; codeLenInByte = 64
; TotalNumSgprs: 6
; NumVgprs: 2
; ScratchSize: 0
; MemoryBound: 0
; FloatMode: 240
; IeeeMode: 1
; LDSByteSize: 0 bytes/workgroup (compile time only)
; SGPRBlocks: 0
; VGPRBlocks: 0
; NumSGPRsForWavesPerEU: 6
; NumVGPRsForWavesPerEU: 2
; NamedBarCnt: 0
; Occupancy: 16
; WaveLimiterHint : 0
; COMPUTE_PGM_RSRC2:SCRATCH_EN: 0
; COMPUTE_PGM_RSRC2:USER_SGPR: 2
; COMPUTE_PGM_RSRC2:TRAP_HANDLER: 0
; COMPUTE_PGM_RSRC2:TGID_X_EN: 1
; COMPUTE_PGM_RSRC2:TGID_Y_EN: 0
; COMPUTE_PGM_RSRC2:TGID_Z_EN: 0
; COMPUTE_PGM_RSRC2:TIDIG_COMP_CNT: 0
	.section	.text._ZN9rocsolver6v33100L10reset_infoIiiiEEvPT_T0_T1_S4_,"axG",@progbits,_ZN9rocsolver6v33100L10reset_infoIiiiEEvPT_T0_T1_S4_,comdat
	.globl	_ZN9rocsolver6v33100L10reset_infoIiiiEEvPT_T0_T1_S4_ ; -- Begin function _ZN9rocsolver6v33100L10reset_infoIiiiEEvPT_T0_T1_S4_
	.p2align	8
	.type	_ZN9rocsolver6v33100L10reset_infoIiiiEEvPT_T0_T1_S4_,@function
_ZN9rocsolver6v33100L10reset_infoIiiiEEvPT_T0_T1_S4_: ; @_ZN9rocsolver6v33100L10reset_infoIiiiEEvPT_T0_T1_S4_
; %bb.0:
	s_clause 0x1
	s_load_b32 s2, s[0:1], 0x24
	s_load_b96 s[4:6], s[0:1], 0x8
	s_bfe_u32 s3, ttmp6, 0x4000c
	s_and_b32 s7, ttmp6, 15
	s_add_co_i32 s3, s3, 1
	s_getreg_b32 s8, hwreg(HW_REG_IB_STS2, 6, 4)
	s_mul_i32 s3, ttmp9, s3
	s_delay_alu instid0(SALU_CYCLE_1) | instskip(SKIP_4) | instid1(SALU_CYCLE_1)
	s_add_co_i32 s7, s7, s3
	s_wait_kmcnt 0x0
	s_and_b32 s2, s2, 0xffff
	s_cmp_eq_u32 s8, 0
	s_cselect_b32 s3, ttmp9, s7
	v_mad_u32 v0, s3, s2, v0
	s_mov_b32 s2, exec_lo
	s_delay_alu instid0(VALU_DEP_1)
	v_cmpx_gt_i32_e64 s4, v0
	s_cbranch_execz .LBB1_2
; %bb.1:
	s_load_b64 s[0:1], s[0:1], 0x0
	v_mad_u32 v1, v0, s6, s5
	s_wait_kmcnt 0x0
	global_store_b32 v0, v1, s[0:1] scale_offset
.LBB1_2:
	s_endpgm
	.section	.rodata,"a",@progbits
	.p2align	6, 0x0
	.amdhsa_kernel _ZN9rocsolver6v33100L10reset_infoIiiiEEvPT_T0_T1_S4_
		.amdhsa_group_segment_fixed_size 0
		.amdhsa_private_segment_fixed_size 0
		.amdhsa_kernarg_size 280
		.amdhsa_user_sgpr_count 2
		.amdhsa_user_sgpr_dispatch_ptr 0
		.amdhsa_user_sgpr_queue_ptr 0
		.amdhsa_user_sgpr_kernarg_segment_ptr 1
		.amdhsa_user_sgpr_dispatch_id 0
		.amdhsa_user_sgpr_kernarg_preload_length 0
		.amdhsa_user_sgpr_kernarg_preload_offset 0
		.amdhsa_user_sgpr_private_segment_size 0
		.amdhsa_wavefront_size32 1
		.amdhsa_uses_dynamic_stack 0
		.amdhsa_enable_private_segment 0
		.amdhsa_system_sgpr_workgroup_id_x 1
		.amdhsa_system_sgpr_workgroup_id_y 0
		.amdhsa_system_sgpr_workgroup_id_z 0
		.amdhsa_system_sgpr_workgroup_info 0
		.amdhsa_system_vgpr_workitem_id 0
		.amdhsa_next_free_vgpr 2
		.amdhsa_next_free_sgpr 9
		.amdhsa_named_barrier_count 0
		.amdhsa_reserve_vcc 0
		.amdhsa_float_round_mode_32 0
		.amdhsa_float_round_mode_16_64 0
		.amdhsa_float_denorm_mode_32 3
		.amdhsa_float_denorm_mode_16_64 3
		.amdhsa_fp16_overflow 0
		.amdhsa_memory_ordered 1
		.amdhsa_forward_progress 1
		.amdhsa_inst_pref_size 2
		.amdhsa_round_robin_scheduling 0
		.amdhsa_exception_fp_ieee_invalid_op 0
		.amdhsa_exception_fp_denorm_src 0
		.amdhsa_exception_fp_ieee_div_zero 0
		.amdhsa_exception_fp_ieee_overflow 0
		.amdhsa_exception_fp_ieee_underflow 0
		.amdhsa_exception_fp_ieee_inexact 0
		.amdhsa_exception_int_div_zero 0
	.end_amdhsa_kernel
	.section	.text._ZN9rocsolver6v33100L10reset_infoIiiiEEvPT_T0_T1_S4_,"axG",@progbits,_ZN9rocsolver6v33100L10reset_infoIiiiEEvPT_T0_T1_S4_,comdat
.Lfunc_end1:
	.size	_ZN9rocsolver6v33100L10reset_infoIiiiEEvPT_T0_T1_S4_, .Lfunc_end1-_ZN9rocsolver6v33100L10reset_infoIiiiEEvPT_T0_T1_S4_
                                        ; -- End function
	.set _ZN9rocsolver6v33100L10reset_infoIiiiEEvPT_T0_T1_S4_.num_vgpr, 2
	.set _ZN9rocsolver6v33100L10reset_infoIiiiEEvPT_T0_T1_S4_.num_agpr, 0
	.set _ZN9rocsolver6v33100L10reset_infoIiiiEEvPT_T0_T1_S4_.numbered_sgpr, 9
	.set _ZN9rocsolver6v33100L10reset_infoIiiiEEvPT_T0_T1_S4_.num_named_barrier, 0
	.set _ZN9rocsolver6v33100L10reset_infoIiiiEEvPT_T0_T1_S4_.private_seg_size, 0
	.set _ZN9rocsolver6v33100L10reset_infoIiiiEEvPT_T0_T1_S4_.uses_vcc, 0
	.set _ZN9rocsolver6v33100L10reset_infoIiiiEEvPT_T0_T1_S4_.uses_flat_scratch, 0
	.set _ZN9rocsolver6v33100L10reset_infoIiiiEEvPT_T0_T1_S4_.has_dyn_sized_stack, 0
	.set _ZN9rocsolver6v33100L10reset_infoIiiiEEvPT_T0_T1_S4_.has_recursion, 0
	.set _ZN9rocsolver6v33100L10reset_infoIiiiEEvPT_T0_T1_S4_.has_indirect_call, 0
	.section	.AMDGPU.csdata,"",@progbits
; Kernel info:
; codeLenInByte = 136
; TotalNumSgprs: 9
; NumVgprs: 2
; ScratchSize: 0
; MemoryBound: 0
; FloatMode: 240
; IeeeMode: 1
; LDSByteSize: 0 bytes/workgroup (compile time only)
; SGPRBlocks: 0
; VGPRBlocks: 0
; NumSGPRsForWavesPerEU: 9
; NumVGPRsForWavesPerEU: 2
; NamedBarCnt: 0
; Occupancy: 16
; WaveLimiterHint : 0
; COMPUTE_PGM_RSRC2:SCRATCH_EN: 0
; COMPUTE_PGM_RSRC2:USER_SGPR: 2
; COMPUTE_PGM_RSRC2:TRAP_HANDLER: 0
; COMPUTE_PGM_RSRC2:TGID_X_EN: 1
; COMPUTE_PGM_RSRC2:TGID_Y_EN: 0
; COMPUTE_PGM_RSRC2:TGID_Z_EN: 0
; COMPUTE_PGM_RSRC2:TIDIG_COMP_CNT: 0
	.section	.text._ZN9rocsolver6v33100L17getf2_permut_initIfiEEvT0_PS2_l,"axG",@progbits,_ZN9rocsolver6v33100L17getf2_permut_initIfiEEvT0_PS2_l,comdat
	.globl	_ZN9rocsolver6v33100L17getf2_permut_initIfiEEvT0_PS2_l ; -- Begin function _ZN9rocsolver6v33100L17getf2_permut_initIfiEEvT0_PS2_l
	.p2align	8
	.type	_ZN9rocsolver6v33100L17getf2_permut_initIfiEEvT0_PS2_l,@function
_ZN9rocsolver6v33100L17getf2_permut_initIfiEEvT0_PS2_l: ; @_ZN9rocsolver6v33100L17getf2_permut_initIfiEEvT0_PS2_l
; %bb.0:
	s_clause 0x1
	s_load_b32 s3, s[0:1], 0x24
	s_load_b32 s4, s[0:1], 0x0
	s_bfe_u32 s2, ttmp6, 0x4000c
	s_and_b32 s5, ttmp6, 15
	s_add_co_i32 s6, s2, 1
	s_getreg_b32 s2, hwreg(HW_REG_IB_STS2, 6, 4)
	s_mul_i32 s6, ttmp9, s6
	s_delay_alu instid0(SALU_CYCLE_1) | instskip(SKIP_4) | instid1(SALU_CYCLE_1)
	s_add_co_i32 s5, s5, s6
	s_wait_kmcnt 0x0
	s_and_b32 s3, s3, 0xffff
	s_cmp_eq_u32 s2, 0
	s_cselect_b32 s5, ttmp9, s5
	v_mad_u32 v0, s5, s3, v0
	s_mov_b32 s3, exec_lo
	s_delay_alu instid0(VALU_DEP_1)
	v_cmpx_gt_i32_e64 s4, v0
	s_cbranch_execz .LBB2_2
; %bb.1:
	s_load_b128 s[4:7], s[0:1], 0x8
	s_wait_xcnt 0x0
	s_bfe_u32 s0, ttmp6, 0x40010
	s_bfe_u32 s1, ttmp6, 0x40004
	s_add_co_i32 s0, s0, 1
	s_delay_alu instid0(SALU_CYCLE_1) | instskip(NEXT) | instid1(SALU_CYCLE_1)
	s_mul_i32 s0, ttmp7, s0
	s_add_co_i32 s1, s1, s0
	s_cmp_eq_u32 s2, 0
	s_cselect_b32 s0, ttmp7, s1
	s_delay_alu instid0(SALU_CYCLE_1) | instskip(SKIP_2) | instid1(SALU_CYCLE_1)
	s_ashr_i32 s1, s0, 31
	s_wait_kmcnt 0x0
	s_mul_u64 s[0:1], s[6:7], s[0:1]
	s_lshl_b64 s[0:1], s[0:1], 2
	s_delay_alu instid0(SALU_CYCLE_1)
	s_add_nc_u64 s[0:1], s[4:5], s[0:1]
	global_store_b32 v0, v0, s[0:1] scale_offset
.LBB2_2:
	s_endpgm
	.section	.rodata,"a",@progbits
	.p2align	6, 0x0
	.amdhsa_kernel _ZN9rocsolver6v33100L17getf2_permut_initIfiEEvT0_PS2_l
		.amdhsa_group_segment_fixed_size 0
		.amdhsa_private_segment_fixed_size 0
		.amdhsa_kernarg_size 280
		.amdhsa_user_sgpr_count 2
		.amdhsa_user_sgpr_dispatch_ptr 0
		.amdhsa_user_sgpr_queue_ptr 0
		.amdhsa_user_sgpr_kernarg_segment_ptr 1
		.amdhsa_user_sgpr_dispatch_id 0
		.amdhsa_user_sgpr_kernarg_preload_length 0
		.amdhsa_user_sgpr_kernarg_preload_offset 0
		.amdhsa_user_sgpr_private_segment_size 0
		.amdhsa_wavefront_size32 1
		.amdhsa_uses_dynamic_stack 0
		.amdhsa_enable_private_segment 0
		.amdhsa_system_sgpr_workgroup_id_x 1
		.amdhsa_system_sgpr_workgroup_id_y 1
		.amdhsa_system_sgpr_workgroup_id_z 0
		.amdhsa_system_sgpr_workgroup_info 0
		.amdhsa_system_vgpr_workitem_id 0
		.amdhsa_next_free_vgpr 1
		.amdhsa_next_free_sgpr 8
		.amdhsa_named_barrier_count 0
		.amdhsa_reserve_vcc 0
		.amdhsa_float_round_mode_32 0
		.amdhsa_float_round_mode_16_64 0
		.amdhsa_float_denorm_mode_32 3
		.amdhsa_float_denorm_mode_16_64 3
		.amdhsa_fp16_overflow 0
		.amdhsa_memory_ordered 1
		.amdhsa_forward_progress 1
		.amdhsa_inst_pref_size 2
		.amdhsa_round_robin_scheduling 0
		.amdhsa_exception_fp_ieee_invalid_op 0
		.amdhsa_exception_fp_denorm_src 0
		.amdhsa_exception_fp_ieee_div_zero 0
		.amdhsa_exception_fp_ieee_overflow 0
		.amdhsa_exception_fp_ieee_underflow 0
		.amdhsa_exception_fp_ieee_inexact 0
		.amdhsa_exception_int_div_zero 0
	.end_amdhsa_kernel
	.section	.text._ZN9rocsolver6v33100L17getf2_permut_initIfiEEvT0_PS2_l,"axG",@progbits,_ZN9rocsolver6v33100L17getf2_permut_initIfiEEvT0_PS2_l,comdat
.Lfunc_end2:
	.size	_ZN9rocsolver6v33100L17getf2_permut_initIfiEEvT0_PS2_l, .Lfunc_end2-_ZN9rocsolver6v33100L17getf2_permut_initIfiEEvT0_PS2_l
                                        ; -- End function
	.set _ZN9rocsolver6v33100L17getf2_permut_initIfiEEvT0_PS2_l.num_vgpr, 1
	.set _ZN9rocsolver6v33100L17getf2_permut_initIfiEEvT0_PS2_l.num_agpr, 0
	.set _ZN9rocsolver6v33100L17getf2_permut_initIfiEEvT0_PS2_l.numbered_sgpr, 8
	.set _ZN9rocsolver6v33100L17getf2_permut_initIfiEEvT0_PS2_l.num_named_barrier, 0
	.set _ZN9rocsolver6v33100L17getf2_permut_initIfiEEvT0_PS2_l.private_seg_size, 0
	.set _ZN9rocsolver6v33100L17getf2_permut_initIfiEEvT0_PS2_l.uses_vcc, 0
	.set _ZN9rocsolver6v33100L17getf2_permut_initIfiEEvT0_PS2_l.uses_flat_scratch, 0
	.set _ZN9rocsolver6v33100L17getf2_permut_initIfiEEvT0_PS2_l.has_dyn_sized_stack, 0
	.set _ZN9rocsolver6v33100L17getf2_permut_initIfiEEvT0_PS2_l.has_recursion, 0
	.set _ZN9rocsolver6v33100L17getf2_permut_initIfiEEvT0_PS2_l.has_indirect_call, 0
	.section	.AMDGPU.csdata,"",@progbits
; Kernel info:
; codeLenInByte = 196
; TotalNumSgprs: 8
; NumVgprs: 1
; ScratchSize: 0
; MemoryBound: 0
; FloatMode: 240
; IeeeMode: 1
; LDSByteSize: 0 bytes/workgroup (compile time only)
; SGPRBlocks: 0
; VGPRBlocks: 0
; NumSGPRsForWavesPerEU: 8
; NumVGPRsForWavesPerEU: 1
; NamedBarCnt: 0
; Occupancy: 16
; WaveLimiterHint : 0
; COMPUTE_PGM_RSRC2:SCRATCH_EN: 0
; COMPUTE_PGM_RSRC2:USER_SGPR: 2
; COMPUTE_PGM_RSRC2:TRAP_HANDLER: 0
; COMPUTE_PGM_RSRC2:TGID_X_EN: 1
; COMPUTE_PGM_RSRC2:TGID_Y_EN: 1
; COMPUTE_PGM_RSRC2:TGID_Z_EN: 0
; COMPUTE_PGM_RSRC2:TIDIG_COMP_CNT: 0
	.section	.text._ZN9rocsolver6v33100L11getf2_iamaxIfiPKPfEEvT0_T1_lS5_lPS5_,"axG",@progbits,_ZN9rocsolver6v33100L11getf2_iamaxIfiPKPfEEvT0_T1_lS5_lPS5_,comdat
	.globl	_ZN9rocsolver6v33100L11getf2_iamaxIfiPKPfEEvT0_T1_lS5_lPS5_ ; -- Begin function _ZN9rocsolver6v33100L11getf2_iamaxIfiPKPfEEvT0_T1_lS5_lPS5_
	.p2align	8
	.type	_ZN9rocsolver6v33100L11getf2_iamaxIfiPKPfEEvT0_T1_lS5_lPS5_,@function
_ZN9rocsolver6v33100L11getf2_iamaxIfiPKPfEEvT0_T1_lS5_lPS5_: ; @_ZN9rocsolver6v33100L11getf2_iamaxIfiPKPfEEvT0_T1_lS5_lPS5_
; %bb.0:
	s_load_b32 s3, s[0:1], 0x0
	s_bfe_u32 s2, ttmp6, 0x40010
	s_bfe_u32 s4, ttmp6, 0x40004
	s_add_co_i32 s2, s2, 1
	s_getreg_b32 s5, hwreg(HW_REG_IB_STS2, 6, 4)
	s_mul_i32 s2, ttmp7, s2
	v_mov_b32_e32 v1, 0
	s_add_co_i32 s4, s4, s2
	s_cmp_eq_u32 s5, 0
	v_bfrev_b32_e32 v2, -2
	s_cselect_b32 s4, ttmp7, s4
	s_mov_b32 s9, 0
	s_ashr_i32 s5, s4, 31
	s_mov_b32 s8, exec_lo
	s_wait_kmcnt 0x0
	v_cmpx_gt_i32_e64 s3, v0
	s_cbranch_execz .LBB3_4
; %bb.1:
	s_clause 0x1
	s_load_b128 s[12:15], s[0:1], 0x8
	s_load_b32 s2, s[0:1], 0x18
	s_lshl_b64 s[6:7], s[4:5], 3
	v_dual_mov_b32 v1, 0 :: v_dual_mov_b32 v4, v0
	v_bfrev_b32_e32 v2, -2
	s_wait_kmcnt 0x0
	s_add_nc_u64 s[6:7], s[12:13], s[6:7]
	v_mul_lo_u32 v3, v0, s2
	s_load_b64 s[6:7], s[6:7], 0x0
	s_lshl_b64 s[10:11], s[14:15], 2
	s_wait_kmcnt 0x0
	s_add_nc_u64 s[6:7], s[6:7], s[10:11]
	s_lshl_b32 s10, s2, 10
.LBB3_2:                                ; =>This Inner Loop Header: Depth=1
	flat_load_b32 v5, v3, s[6:7] scale_offset
	v_cmp_eq_u32_e32 vcc_lo, 0x7fffffff, v2
	s_wait_xcnt 0x0
	v_dual_add_nc_u32 v6, 1, v4 :: v_dual_add_nc_u32 v3, s10, v3
	v_add_nc_u32_e32 v4, 0x400, v4
	s_delay_alu instid0(VALU_DEP_1)
	v_cmp_le_i32_e64 s2, s3, v4
	s_wait_loadcnt_dscnt 0x0
	v_cmp_lt_f32_e64 s11, v1, |v5|
	s_or_b32 vcc_lo, s11, vcc_lo
	s_or_b32 s9, s2, s9
	v_cndmask_b32_e64 v1, v1, |v5|, vcc_lo
	v_cndmask_b32_e32 v2, v2, v6, vcc_lo
	s_and_not1_b32 exec_lo, exec_lo, s9
	s_cbranch_execnz .LBB3_2
; %bb.3:
	s_or_b32 exec_lo, exec_lo, s9
.LBB3_4:
	s_delay_alu instid0(SALU_CYCLE_1)
	s_or_b32 exec_lo, exec_lo, s8
	v_lshlrev_b32_e32 v3, 2, v0
	s_cmp_lt_i32 s3, 2
	ds_store_2addr_stride64_b32 v3, v2, v1 offset1:16
	s_wait_dscnt 0x0
	s_barrier_signal -1
	s_barrier_wait -1
	s_cbranch_scc1 .LBB3_53
; %bb.5:
	v_or_b32_e32 v4, 0x1000, v3
	s_mov_b32 s3, exec_lo
	v_cmpx_gt_u32_e32 0x200, v0
	s_cbranch_execz .LBB3_11
; %bb.6:
	ds_load_b32 v5, v4 offset:2048
	ds_load_b32 v6, v3 offset:2048
	s_mov_b32 s7, exec_lo
	s_wait_dscnt 0x1
	v_cmp_lt_f32_e64 s6, v1, v5
	v_cmpx_nlt_f32_e32 v1, v5
	s_cbranch_execz .LBB3_8
; %bb.7:
	v_cmp_eq_f32_e32 vcc_lo, v1, v5
	s_wait_dscnt 0x0
	v_cmp_gt_i32_e64 s2, v2, v6
	s_and_not1_b32 s6, s6, exec_lo
	s_and_b32 s2, vcc_lo, s2
	s_delay_alu instid0(SALU_CYCLE_1) | instskip(NEXT) | instid1(SALU_CYCLE_1)
	s_and_b32 s2, s2, exec_lo
	s_or_b32 s6, s6, s2
.LBB3_8:
	s_or_b32 exec_lo, exec_lo, s7
	s_and_saveexec_b32 s2, s6
	s_cbranch_execz .LBB3_10
; %bb.9:
	s_wait_dscnt 0x0
	v_dual_mov_b32 v2, v6 :: v_dual_mov_b32 v1, v5
	ds_store_b32 v4, v5
	ds_store_b32 v3, v6
.LBB3_10:
	s_or_b32 exec_lo, exec_lo, s2
.LBB3_11:
	s_delay_alu instid0(SALU_CYCLE_1) | instskip(NEXT) | instid1(SALU_CYCLE_1)
	s_or_b32 exec_lo, exec_lo, s3
	s_mov_b32 s3, exec_lo
	s_wait_dscnt 0x0
	s_barrier_signal -1
	s_barrier_wait -1
	v_cmpx_gt_u32_e32 0x100, v0
	s_cbranch_execz .LBB3_17
; %bb.12:
	ds_load_b32 v5, v4 offset:1024
	ds_load_b32 v6, v3 offset:1024
	s_mov_b32 s7, exec_lo
	s_wait_dscnt 0x1
	v_cmp_lt_f32_e64 s6, v1, v5
	v_cmpx_nlt_f32_e32 v1, v5
	s_cbranch_execz .LBB3_14
; %bb.13:
	v_cmp_eq_f32_e32 vcc_lo, v1, v5
	s_wait_dscnt 0x0
	v_cmp_gt_i32_e64 s2, v2, v6
	s_and_not1_b32 s6, s6, exec_lo
	s_and_b32 s2, vcc_lo, s2
	s_delay_alu instid0(SALU_CYCLE_1) | instskip(NEXT) | instid1(SALU_CYCLE_1)
	s_and_b32 s2, s2, exec_lo
	s_or_b32 s6, s6, s2
.LBB3_14:
	s_or_b32 exec_lo, exec_lo, s7
	s_and_saveexec_b32 s2, s6
	s_cbranch_execz .LBB3_16
; %bb.15:
	s_wait_dscnt 0x0
	v_dual_mov_b32 v2, v6 :: v_dual_mov_b32 v1, v5
	ds_store_b32 v4, v5
	ds_store_b32 v3, v6
.LBB3_16:
	s_or_b32 exec_lo, exec_lo, s2
.LBB3_17:
	s_delay_alu instid0(SALU_CYCLE_1) | instskip(NEXT) | instid1(SALU_CYCLE_1)
	s_or_b32 exec_lo, exec_lo, s3
	s_mov_b32 s3, exec_lo
	s_wait_dscnt 0x0
	s_barrier_signal -1
	s_barrier_wait -1
	;; [unrolled: 37-line block ×4, first 2 shown]
	v_cmpx_gt_u32_e32 32, v0
	s_cbranch_execz .LBB3_52
; %bb.30:
	ds_load_b32 v5, v4 offset:128
	ds_load_b32 v6, v3 offset:128
	s_mov_b32 s7, exec_lo
	s_wait_dscnt 0x1
	v_cmp_lt_f32_e64 s3, v1, v5
	v_cmpx_nlt_f32_e32 v1, v5
	s_cbranch_execz .LBB3_32
; %bb.31:
	v_cmp_eq_f32_e32 vcc_lo, v1, v5
	s_wait_dscnt 0x0
	v_cmp_gt_i32_e64 s2, v2, v6
	s_and_not1_b32 s3, s3, exec_lo
	s_and_b32 s2, vcc_lo, s2
	s_delay_alu instid0(SALU_CYCLE_1) | instskip(NEXT) | instid1(SALU_CYCLE_1)
	s_and_b32 s2, s2, exec_lo
	s_or_b32 s3, s3, s2
.LBB3_32:
	s_or_b32 exec_lo, exec_lo, s7
	s_and_saveexec_b32 s2, s3
	s_cbranch_execz .LBB3_34
; %bb.33:
	s_wait_dscnt 0x0
	v_dual_mov_b32 v1, v5 :: v_dual_mov_b32 v2, v6
	ds_store_b32 v4, v5
	ds_store_b32 v3, v6
.LBB3_34:
	s_or_b32 exec_lo, exec_lo, s2
	ds_load_b32 v5, v4 offset:64
	s_wait_dscnt 0x1
	ds_load_b32 v6, v3 offset:64
	s_mov_b32 s7, exec_lo
	s_wait_dscnt 0x1
	v_cmp_lt_f32_e64 s3, v1, v5
	v_cmpx_nlt_f32_e32 v1, v5
	s_cbranch_execz .LBB3_36
; %bb.35:
	v_cmp_eq_f32_e32 vcc_lo, v1, v5
	s_wait_dscnt 0x0
	v_cmp_gt_i32_e64 s2, v2, v6
	s_and_not1_b32 s3, s3, exec_lo
	s_and_b32 s2, vcc_lo, s2
	s_delay_alu instid0(SALU_CYCLE_1) | instskip(NEXT) | instid1(SALU_CYCLE_1)
	s_and_b32 s2, s2, exec_lo
	s_or_b32 s3, s3, s2
.LBB3_36:
	s_or_b32 exec_lo, exec_lo, s7
	s_and_saveexec_b32 s2, s3
	s_cbranch_execz .LBB3_38
; %bb.37:
	s_wait_dscnt 0x0
	v_dual_mov_b32 v1, v5 :: v_dual_mov_b32 v2, v6
	ds_store_b32 v4, v5
	ds_store_b32 v3, v6
.LBB3_38:
	s_or_b32 exec_lo, exec_lo, s2
	ds_load_b32 v5, v4 offset:32
	s_wait_dscnt 0x1
	;; [unrolled: 28-line block ×5, first 2 shown]
	ds_load_b32 v6, v3 offset:4
	s_wait_dscnt 0x1
	v_cmp_eq_f32_e32 vcc_lo, v1, v5
	s_wait_dscnt 0x0
	v_cmp_gt_i32_e64 s2, v2, v6
	v_cmp_lt_f32_e64 s3, v1, v5
	s_and_b32 s2, vcc_lo, s2
	s_delay_alu instid0(SALU_CYCLE_1) | instskip(NEXT) | instid1(SALU_CYCLE_1)
	s_or_b32 s2, s3, s2
	s_and_b32 exec_lo, exec_lo, s2
	s_cbranch_execz .LBB3_52
; %bb.51:
	ds_store_b32 v4, v5
	ds_store_b32 v3, v6
.LBB3_52:
	s_or_b32 exec_lo, exec_lo, s6
.LBB3_53:
	s_delay_alu instid0(SALU_CYCLE_1)
	s_mov_b32 s2, exec_lo
	v_cmpx_eq_u32_e32 0, v0
	s_cbranch_execz .LBB3_55
; %bb.54:
	v_mov_b32_e32 v0, 0
	s_load_b64 s[0:1], s[0:1], 0x28
	s_lshl_b64 s[2:3], s[4:5], 2
	ds_load_b32 v1, v0
	s_wait_kmcnt 0x0
	s_add_nc_u64 s[0:1], s[0:1], s[2:3]
	s_wait_dscnt 0x0
	global_store_b32 v0, v1, s[0:1]
.LBB3_55:
	s_endpgm
	.section	.rodata,"a",@progbits
	.p2align	6, 0x0
	.amdhsa_kernel _ZN9rocsolver6v33100L11getf2_iamaxIfiPKPfEEvT0_T1_lS5_lPS5_
		.amdhsa_group_segment_fixed_size 8192
		.amdhsa_private_segment_fixed_size 0
		.amdhsa_kernarg_size 48
		.amdhsa_user_sgpr_count 2
		.amdhsa_user_sgpr_dispatch_ptr 0
		.amdhsa_user_sgpr_queue_ptr 0
		.amdhsa_user_sgpr_kernarg_segment_ptr 1
		.amdhsa_user_sgpr_dispatch_id 0
		.amdhsa_user_sgpr_kernarg_preload_length 0
		.amdhsa_user_sgpr_kernarg_preload_offset 0
		.amdhsa_user_sgpr_private_segment_size 0
		.amdhsa_wavefront_size32 1
		.amdhsa_uses_dynamic_stack 0
		.amdhsa_enable_private_segment 0
		.amdhsa_system_sgpr_workgroup_id_x 1
		.amdhsa_system_sgpr_workgroup_id_y 1
		.amdhsa_system_sgpr_workgroup_id_z 0
		.amdhsa_system_sgpr_workgroup_info 0
		.amdhsa_system_vgpr_workitem_id 0
		.amdhsa_next_free_vgpr 7
		.amdhsa_next_free_sgpr 16
		.amdhsa_named_barrier_count 0
		.amdhsa_reserve_vcc 1
		.amdhsa_float_round_mode_32 0
		.amdhsa_float_round_mode_16_64 0
		.amdhsa_float_denorm_mode_32 3
		.amdhsa_float_denorm_mode_16_64 3
		.amdhsa_fp16_overflow 0
		.amdhsa_memory_ordered 1
		.amdhsa_forward_progress 1
		.amdhsa_inst_pref_size 14
		.amdhsa_round_robin_scheduling 0
		.amdhsa_exception_fp_ieee_invalid_op 0
		.amdhsa_exception_fp_denorm_src 0
		.amdhsa_exception_fp_ieee_div_zero 0
		.amdhsa_exception_fp_ieee_overflow 0
		.amdhsa_exception_fp_ieee_underflow 0
		.amdhsa_exception_fp_ieee_inexact 0
		.amdhsa_exception_int_div_zero 0
	.end_amdhsa_kernel
	.section	.text._ZN9rocsolver6v33100L11getf2_iamaxIfiPKPfEEvT0_T1_lS5_lPS5_,"axG",@progbits,_ZN9rocsolver6v33100L11getf2_iamaxIfiPKPfEEvT0_T1_lS5_lPS5_,comdat
.Lfunc_end3:
	.size	_ZN9rocsolver6v33100L11getf2_iamaxIfiPKPfEEvT0_T1_lS5_lPS5_, .Lfunc_end3-_ZN9rocsolver6v33100L11getf2_iamaxIfiPKPfEEvT0_T1_lS5_lPS5_
                                        ; -- End function
	.set _ZN9rocsolver6v33100L11getf2_iamaxIfiPKPfEEvT0_T1_lS5_lPS5_.num_vgpr, 7
	.set _ZN9rocsolver6v33100L11getf2_iamaxIfiPKPfEEvT0_T1_lS5_lPS5_.num_agpr, 0
	.set _ZN9rocsolver6v33100L11getf2_iamaxIfiPKPfEEvT0_T1_lS5_lPS5_.numbered_sgpr, 16
	.set _ZN9rocsolver6v33100L11getf2_iamaxIfiPKPfEEvT0_T1_lS5_lPS5_.num_named_barrier, 0
	.set _ZN9rocsolver6v33100L11getf2_iamaxIfiPKPfEEvT0_T1_lS5_lPS5_.private_seg_size, 0
	.set _ZN9rocsolver6v33100L11getf2_iamaxIfiPKPfEEvT0_T1_lS5_lPS5_.uses_vcc, 1
	.set _ZN9rocsolver6v33100L11getf2_iamaxIfiPKPfEEvT0_T1_lS5_lPS5_.uses_flat_scratch, 0
	.set _ZN9rocsolver6v33100L11getf2_iamaxIfiPKPfEEvT0_T1_lS5_lPS5_.has_dyn_sized_stack, 0
	.set _ZN9rocsolver6v33100L11getf2_iamaxIfiPKPfEEvT0_T1_lS5_lPS5_.has_recursion, 0
	.set _ZN9rocsolver6v33100L11getf2_iamaxIfiPKPfEEvT0_T1_lS5_lPS5_.has_indirect_call, 0
	.section	.AMDGPU.csdata,"",@progbits
; Kernel info:
; codeLenInByte = 1712
; TotalNumSgprs: 18
; NumVgprs: 7
; ScratchSize: 0
; MemoryBound: 0
; FloatMode: 240
; IeeeMode: 1
; LDSByteSize: 8192 bytes/workgroup (compile time only)
; SGPRBlocks: 0
; VGPRBlocks: 0
; NumSGPRsForWavesPerEU: 18
; NumVGPRsForWavesPerEU: 7
; NamedBarCnt: 0
; Occupancy: 16
; WaveLimiterHint : 1
; COMPUTE_PGM_RSRC2:SCRATCH_EN: 0
; COMPUTE_PGM_RSRC2:USER_SGPR: 2
; COMPUTE_PGM_RSRC2:TRAP_HANDLER: 0
; COMPUTE_PGM_RSRC2:TGID_X_EN: 1
; COMPUTE_PGM_RSRC2:TGID_Y_EN: 1
; COMPUTE_PGM_RSRC2:TGID_Z_EN: 0
; COMPUTE_PGM_RSRC2:TIDIG_COMP_CNT: 0
	.section	.text._ZN9rocsolver6v33100L23getf2_check_singularityIfiiPKPfEEvT0_S5_T2_lS5_S5_lPS5_llPT_S7_PT1_S5_S7_l,"axG",@progbits,_ZN9rocsolver6v33100L23getf2_check_singularityIfiiPKPfEEvT0_S5_T2_lS5_S5_lPS5_llPT_S7_PT1_S5_S7_l,comdat
	.globl	_ZN9rocsolver6v33100L23getf2_check_singularityIfiiPKPfEEvT0_S5_T2_lS5_S5_lPS5_llPT_S7_PT1_S5_S7_l ; -- Begin function _ZN9rocsolver6v33100L23getf2_check_singularityIfiiPKPfEEvT0_S5_T2_lS5_S5_lPS5_llPT_S7_PT1_S5_S7_l
	.p2align	8
	.type	_ZN9rocsolver6v33100L23getf2_check_singularityIfiiPKPfEEvT0_S5_T2_lS5_S5_lPS5_llPT_S7_PT1_S5_S7_l,@function
_ZN9rocsolver6v33100L23getf2_check_singularityIfiiPKPfEEvT0_S5_T2_lS5_S5_lPS5_llPT_S7_PT1_S5_S7_l: ; @_ZN9rocsolver6v33100L23getf2_check_singularityIfiiPKPfEEvT0_S5_T2_lS5_S5_lPS5_llPT_S7_PT1_S5_S7_l
; %bb.0:
	s_clause 0x1
	s_load_b32 s5, s[0:1], 0x7c
	s_load_b64 s[2:3], s[0:1], 0x0
	s_bfe_u32 s4, ttmp6, 0x4000c
	s_and_b32 s6, ttmp6, 15
	s_add_co_i32 s7, s4, 1
	s_getreg_b32 s4, hwreg(HW_REG_IB_STS2, 6, 4)
	s_mul_i32 s7, ttmp9, s7
	s_delay_alu instid0(SALU_CYCLE_1) | instskip(SKIP_4) | instid1(SALU_CYCLE_1)
	s_add_co_i32 s6, s6, s7
	s_wait_kmcnt 0x0
	s_and_b32 s5, s5, 0xffff
	s_cmp_eq_u32 s4, 0
	s_cselect_b32 s6, ttmp9, s6
	v_mad_u32 v0, s6, s5, v0
	s_delay_alu instid0(VALU_DEP_1)
	v_cmp_gt_i32_e32 vcc_lo, s2, v0
	s_and_saveexec_b32 s2, vcc_lo
	s_cbranch_execz .LBB4_10
; %bb.1:
	s_load_b128 s[12:15], s[0:1], 0x48
	s_bfe_u32 s2, ttmp6, 0x40010
	s_load_b128 s[8:11], s[0:1], 0x8
	s_add_co_i32 s2, s2, 1
	s_bfe_u32 s5, ttmp6, 0x40004
	s_mul_i32 s2, ttmp7, s2
	s_delay_alu instid0(SALU_CYCLE_1) | instskip(SKIP_2) | instid1(SALU_CYCLE_1)
	s_add_co_i32 s5, s5, s2
	s_cmp_eq_u32 s4, 0
	s_cselect_b32 s24, ttmp7, s5
	s_ashr_i32 s25, s24, 31
	s_delay_alu instid0(SALU_CYCLE_1)
	s_lshl_b64 s[20:21], s[24:25], 2
	s_wait_kmcnt 0x0
	s_add_nc_u64 s[4:5], s[12:13], s[20:21]
	s_load_b64 s[12:13], s[0:1], 0x18
	s_load_b32 s26, s[4:5], 0x0
	s_wait_xcnt 0x0
	s_lshl_b64 s[4:5], s[24:25], 3
	s_lshl_b64 s[6:7], s[10:11], 2
	s_add_nc_u64 s[4:5], s[8:9], s[4:5]
	s_load_b64 s[4:5], s[4:5], 0x0
	s_wait_kmcnt 0x0
	s_add_co_i32 s28, s26, s3
	s_delay_alu instid0(SALU_CYCLE_1) | instskip(NEXT) | instid1(SALU_CYCLE_1)
	s_add_co_i32 s2, s28, -1
	s_cmp_eq_u32 s2, s3
	s_add_nc_u64 s[22:23], s[4:5], s[6:7]
	s_cselect_b32 s27, -1, 0
	s_delay_alu instid0(SALU_CYCLE_1)
	s_and_b32 vcc_lo, exec_lo, s27
	s_cbranch_vccnz .LBB4_3
; %bb.2:
	v_mul_lo_u32 v1, v0, s13
	s_delay_alu instid0(VALU_DEP_1)
	v_mad_u32 v2, s2, s12, v1
	v_mad_u32 v1, s12, s3, v1
	s_clause 0x1
	flat_load_b32 v3, v2, s[22:23] scale_offset
	flat_load_b32 v4, v1, s[22:23] scale_offset
	s_wait_loadcnt_dscnt 0x101
	flat_store_b32 v1, v3, s[22:23] scale_offset
	s_wait_loadcnt_dscnt 0x1
	flat_store_b32 v2, v4, s[22:23] scale_offset
.LBB4_3:
	v_cmp_eq_u32_e32 vcc_lo, s3, v0
	s_wait_xcnt 0x0
	s_and_b32 exec_lo, exec_lo, vcc_lo
	s_cbranch_execz .LBB4_10
; %bb.4:
	s_clause 0x2
	s_load_b256 s[4:11], s[0:1], 0x28
	s_load_b32 s2, s[0:1], 0x58
	s_load_b128 s[16:19], s[0:1], 0x60
	s_wait_kmcnt 0x0
	s_mul_u64 s[0:1], s[8:9], s[24:25]
	s_lshl_b64 s[6:7], s[6:7], 2
	s_add_co_i32 s8, s28, s2
	s_lshl_b64 s[0:1], s[0:1], 2
	s_cmp_eq_u64 s[16:17], 0
	v_dual_mov_b32 v0, s3 :: v_dual_mov_b32 v1, s8
	s_cselect_b32 s8, -1, 0
	s_add_nc_u64 s[0:1], s[4:5], s[0:1]
	s_or_b32 s4, s8, s27
	s_add_nc_u64 s[0:1], s[0:1], s[6:7]
	s_and_b32 vcc_lo, exec_lo, s4
	global_store_b32 v0, v1, s[0:1] scale_offset
	s_cbranch_vccnz .LBB4_6
; %bb.5:
	s_wait_xcnt 0x0
	s_mul_u64 s[0:1], s[18:19], s[24:25]
	s_ashr_i32 s5, s3, 31
	s_lshl_b64 s[0:1], s[0:1], 2
	s_mov_b32 s4, s3
	v_dual_mov_b32 v0, s26 :: v_dual_mov_b32 v1, 0
	s_add_nc_u64 s[0:1], s[16:17], s[0:1]
	s_lshl_b64 s[4:5], s[4:5], 2
	s_delay_alu instid0(SALU_CYCLE_1)
	s_add_nc_u64 s[0:1], s[0:1], s[4:5]
	s_clause 0x1
	global_load_b32 v2, v0, s[0:1] offset:-4 scale_offset
	global_load_b32 v3, v1, s[0:1]
	s_wait_loadcnt 0x1
	global_store_b32 v1, v2, s[0:1]
	s_wait_loadcnt 0x0
	global_store_b32 v0, v3, s[0:1] offset:-4 scale_offset
.LBB4_6:
	s_wait_xcnt 0x0
	s_add_co_i32 s0, s13, s12
	s_delay_alu instid0(SALU_CYCLE_1) | instskip(NEXT) | instid1(SALU_CYCLE_1)
	s_mul_i32 s0, s0, s3
	v_mov_b32_e32 v0, s0
	s_mov_b32 s0, exec_lo
	flat_load_b32 v0, v0, s[22:23] scale_offset
	s_wait_loadcnt_dscnt 0x0
	v_cmpx_neq_f32_e32 0, v0
	s_xor_b32 s0, exec_lo, s0
	s_cbranch_execz .LBB4_8
; %bb.7:
	v_div_scale_f32 v1, null, v0, v0, 1.0
	v_div_scale_f32 v4, vcc_lo, 1.0, v0, 1.0
	s_add_nc_u64 s[4:5], s[10:11], s[20:21]
	v_rcp_f32_e32 v2, v1
	v_nop
	s_delay_alu instid0(TRANS32_DEP_1) | instskip(NEXT) | instid1(VALU_DEP_1)
	v_fma_f32 v3, -v1, v2, 1.0
	v_fmac_f32_e32 v2, v3, v2
	s_delay_alu instid0(VALU_DEP_1) | instskip(NEXT) | instid1(VALU_DEP_1)
	v_mul_f32_e32 v3, v4, v2
	v_fma_f32 v5, -v1, v3, v4
	s_delay_alu instid0(VALU_DEP_1) | instskip(NEXT) | instid1(VALU_DEP_1)
	v_fmac_f32_e32 v3, v5, v2
	v_fma_f32 v1, -v1, v3, v4
	s_delay_alu instid0(VALU_DEP_1) | instskip(NEXT) | instid1(VALU_DEP_1)
	v_div_fmas_f32 v1, v1, v2, v3
	v_div_fixup_f32 v0, v1, v0, 1.0
	v_mov_b32_e32 v1, 0
	global_store_b32 v1, v0, s[4:5]
.LBB4_8:
	s_wait_xcnt 0x0
	s_and_not1_saveexec_b32 s0, s0
	s_cbranch_execz .LBB4_10
; %bb.9:
	v_mov_b32_e32 v0, 0
	s_add_nc_u64 s[0:1], s[14:15], s[20:21]
	s_add_nc_u64 s[4:5], s[10:11], s[20:21]
	global_load_b32 v1, v0, s[0:1]
	s_wait_loadcnt 0x0
	v_cmp_ne_u32_e32 vcc_lo, 0, v1
	v_mov_b32_e32 v1, 1.0
	global_store_b32 v0, v1, s[4:5]
	s_cbranch_vccz .LBB4_11
.LBB4_10:
	s_endpgm
.LBB4_11:
	s_add_co_i32 s2, s3, s2
	s_delay_alu instid0(SALU_CYCLE_1)
	s_add_co_i32 s2, s2, 1
	s_wait_xcnt 0x0
	v_mov_b32_e32 v1, s2
	global_store_b32 v0, v1, s[0:1]
	s_endpgm
	.section	.rodata,"a",@progbits
	.p2align	6, 0x0
	.amdhsa_kernel _ZN9rocsolver6v33100L23getf2_check_singularityIfiiPKPfEEvT0_S5_T2_lS5_S5_lPS5_llPT_S7_PT1_S5_S7_l
		.amdhsa_group_segment_fixed_size 0
		.amdhsa_private_segment_fixed_size 0
		.amdhsa_kernarg_size 368
		.amdhsa_user_sgpr_count 2
		.amdhsa_user_sgpr_dispatch_ptr 0
		.amdhsa_user_sgpr_queue_ptr 0
		.amdhsa_user_sgpr_kernarg_segment_ptr 1
		.amdhsa_user_sgpr_dispatch_id 0
		.amdhsa_user_sgpr_kernarg_preload_length 0
		.amdhsa_user_sgpr_kernarg_preload_offset 0
		.amdhsa_user_sgpr_private_segment_size 0
		.amdhsa_wavefront_size32 1
		.amdhsa_uses_dynamic_stack 0
		.amdhsa_enable_private_segment 0
		.amdhsa_system_sgpr_workgroup_id_x 1
		.amdhsa_system_sgpr_workgroup_id_y 1
		.amdhsa_system_sgpr_workgroup_id_z 0
		.amdhsa_system_sgpr_workgroup_info 0
		.amdhsa_system_vgpr_workitem_id 0
		.amdhsa_next_free_vgpr 6
		.amdhsa_next_free_sgpr 29
		.amdhsa_named_barrier_count 0
		.amdhsa_reserve_vcc 1
		.amdhsa_float_round_mode_32 0
		.amdhsa_float_round_mode_16_64 0
		.amdhsa_float_denorm_mode_32 3
		.amdhsa_float_denorm_mode_16_64 3
		.amdhsa_fp16_overflow 0
		.amdhsa_memory_ordered 1
		.amdhsa_forward_progress 1
		.amdhsa_inst_pref_size 7
		.amdhsa_round_robin_scheduling 0
		.amdhsa_exception_fp_ieee_invalid_op 0
		.amdhsa_exception_fp_denorm_src 0
		.amdhsa_exception_fp_ieee_div_zero 0
		.amdhsa_exception_fp_ieee_overflow 0
		.amdhsa_exception_fp_ieee_underflow 0
		.amdhsa_exception_fp_ieee_inexact 0
		.amdhsa_exception_int_div_zero 0
	.end_amdhsa_kernel
	.section	.text._ZN9rocsolver6v33100L23getf2_check_singularityIfiiPKPfEEvT0_S5_T2_lS5_S5_lPS5_llPT_S7_PT1_S5_S7_l,"axG",@progbits,_ZN9rocsolver6v33100L23getf2_check_singularityIfiiPKPfEEvT0_S5_T2_lS5_S5_lPS5_llPT_S7_PT1_S5_S7_l,comdat
.Lfunc_end4:
	.size	_ZN9rocsolver6v33100L23getf2_check_singularityIfiiPKPfEEvT0_S5_T2_lS5_S5_lPS5_llPT_S7_PT1_S5_S7_l, .Lfunc_end4-_ZN9rocsolver6v33100L23getf2_check_singularityIfiiPKPfEEvT0_S5_T2_lS5_S5_lPS5_llPT_S7_PT1_S5_S7_l
                                        ; -- End function
	.set _ZN9rocsolver6v33100L23getf2_check_singularityIfiiPKPfEEvT0_S5_T2_lS5_S5_lPS5_llPT_S7_PT1_S5_S7_l.num_vgpr, 6
	.set _ZN9rocsolver6v33100L23getf2_check_singularityIfiiPKPfEEvT0_S5_T2_lS5_S5_lPS5_llPT_S7_PT1_S5_S7_l.num_agpr, 0
	.set _ZN9rocsolver6v33100L23getf2_check_singularityIfiiPKPfEEvT0_S5_T2_lS5_S5_lPS5_llPT_S7_PT1_S5_S7_l.numbered_sgpr, 29
	.set _ZN9rocsolver6v33100L23getf2_check_singularityIfiiPKPfEEvT0_S5_T2_lS5_S5_lPS5_llPT_S7_PT1_S5_S7_l.num_named_barrier, 0
	.set _ZN9rocsolver6v33100L23getf2_check_singularityIfiiPKPfEEvT0_S5_T2_lS5_S5_lPS5_llPT_S7_PT1_S5_S7_l.private_seg_size, 0
	.set _ZN9rocsolver6v33100L23getf2_check_singularityIfiiPKPfEEvT0_S5_T2_lS5_S5_lPS5_llPT_S7_PT1_S5_S7_l.uses_vcc, 1
	.set _ZN9rocsolver6v33100L23getf2_check_singularityIfiiPKPfEEvT0_S5_T2_lS5_S5_lPS5_llPT_S7_PT1_S5_S7_l.uses_flat_scratch, 1
	.set _ZN9rocsolver6v33100L23getf2_check_singularityIfiiPKPfEEvT0_S5_T2_lS5_S5_lPS5_llPT_S7_PT1_S5_S7_l.has_dyn_sized_stack, 0
	.set _ZN9rocsolver6v33100L23getf2_check_singularityIfiiPKPfEEvT0_S5_T2_lS5_S5_lPS5_llPT_S7_PT1_S5_S7_l.has_recursion, 0
	.set _ZN9rocsolver6v33100L23getf2_check_singularityIfiiPKPfEEvT0_S5_T2_lS5_S5_lPS5_llPT_S7_PT1_S5_S7_l.has_indirect_call, 0
	.section	.AMDGPU.csdata,"",@progbits
; Kernel info:
; codeLenInByte = 824
; TotalNumSgprs: 31
; NumVgprs: 6
; ScratchSize: 0
; MemoryBound: 0
; FloatMode: 240
; IeeeMode: 1
; LDSByteSize: 0 bytes/workgroup (compile time only)
; SGPRBlocks: 0
; VGPRBlocks: 0
; NumSGPRsForWavesPerEU: 31
; NumVGPRsForWavesPerEU: 6
; NamedBarCnt: 0
; Occupancy: 16
; WaveLimiterHint : 1
; COMPUTE_PGM_RSRC2:SCRATCH_EN: 0
; COMPUTE_PGM_RSRC2:USER_SGPR: 2
; COMPUTE_PGM_RSRC2:TRAP_HANDLER: 0
; COMPUTE_PGM_RSRC2:TGID_X_EN: 1
; COMPUTE_PGM_RSRC2:TGID_Y_EN: 1
; COMPUTE_PGM_RSRC2:TGID_Z_EN: 0
; COMPUTE_PGM_RSRC2:TIDIG_COMP_CNT: 0
	.section	.text._ZN9rocsolver6v33100L28getf2_npvt_check_singularityIfiiPKPfEEvT0_T2_lS5_S5_lPT_PT1_S5_,"axG",@progbits,_ZN9rocsolver6v33100L28getf2_npvt_check_singularityIfiiPKPfEEvT0_T2_lS5_S5_lPT_PT1_S5_,comdat
	.globl	_ZN9rocsolver6v33100L28getf2_npvt_check_singularityIfiiPKPfEEvT0_T2_lS5_S5_lPT_PT1_S5_ ; -- Begin function _ZN9rocsolver6v33100L28getf2_npvt_check_singularityIfiiPKPfEEvT0_T2_lS5_S5_lPT_PT1_S5_
	.p2align	8
	.type	_ZN9rocsolver6v33100L28getf2_npvt_check_singularityIfiiPKPfEEvT0_T2_lS5_S5_lPT_PT1_S5_,@function
_ZN9rocsolver6v33100L28getf2_npvt_check_singularityIfiiPKPfEEvT0_T2_lS5_S5_lPT_PT1_S5_: ; @_ZN9rocsolver6v33100L28getf2_npvt_check_singularityIfiiPKPfEEvT0_T2_lS5_S5_lPT_PT1_S5_
; %bb.0:
	s_clause 0x1
	s_load_b128 s[12:15], s[0:1], 0x8
	s_load_b32 s8, s[0:1], 0x0
	s_bfe_u32 s2, ttmp6, 0x40010
	s_bfe_u32 s3, ttmp6, 0x40004
	s_add_co_i32 s2, s2, 1
	s_getreg_b32 s4, hwreg(HW_REG_IB_STS2, 6, 4)
	s_mul_i32 s2, ttmp7, s2
	s_load_b64 s[10:11], s[0:1], 0x18
	s_add_co_i32 s3, s3, s2
	s_cmp_eq_u32 s4, 0
	s_cselect_b32 s2, ttmp7, s3
	s_delay_alu instid0(SALU_CYCLE_1) | instskip(NEXT) | instid1(SALU_CYCLE_1)
	s_ashr_i32 s3, s2, 31
	s_lshl_b64 s[4:5], s[2:3], 3
	s_wait_kmcnt 0x0
	s_add_nc_u64 s[12:13], s[12:13], s[4:5]
	s_load_b64 s[16:17], s[12:13], 0x0
	s_load_b128 s[4:7], s[0:1], 0x28
	s_add_co_i32 s9, s11, s10
	s_lshl_b64 s[10:11], s[14:15], 2
	s_mul_i32 s9, s9, s8
	s_delay_alu instid0(SALU_CYCLE_1)
	v_mov_b32_e32 v0, s9
	s_mov_b32 s9, exec_lo
	s_wait_kmcnt 0x0
	s_add_nc_u64 s[10:11], s[16:17], s[10:11]
	flat_load_b32 v0, v0, s[10:11] scale_offset
	s_wait_loadcnt_dscnt 0x0
	v_cmpx_neq_f32_e32 0, v0
	s_xor_b32 s9, exec_lo, s9
	s_cbranch_execz .LBB5_2
; %bb.1:
	v_div_scale_f32 v1, null, v0, v0, 1.0
	v_div_scale_f32 v4, vcc_lo, 1.0, v0, 1.0
	s_lshl_b64 s[10:11], s[2:3], 2
	v_rcp_f32_e32 v2, v1
	s_add_nc_u64 s[10:11], s[4:5], s[10:11]
	v_nop
	s_delay_alu instid0(TRANS32_DEP_1) | instskip(NEXT) | instid1(VALU_DEP_1)
	v_fma_f32 v3, -v1, v2, 1.0
	v_fmac_f32_e32 v2, v3, v2
	s_delay_alu instid0(VALU_DEP_1) | instskip(NEXT) | instid1(VALU_DEP_1)
	v_mul_f32_e32 v3, v4, v2
	v_fma_f32 v5, -v1, v3, v4
	s_delay_alu instid0(VALU_DEP_1) | instskip(NEXT) | instid1(VALU_DEP_1)
	v_fmac_f32_e32 v3, v5, v2
	v_fma_f32 v1, -v1, v3, v4
	s_delay_alu instid0(VALU_DEP_1) | instskip(NEXT) | instid1(VALU_DEP_1)
	v_div_fmas_f32 v1, v1, v2, v3
	v_div_fixup_f32 v0, v1, v0, 1.0
	v_mov_b32_e32 v1, 0
	global_store_b32 v1, v0, s[10:11]
.LBB5_2:
	s_wait_xcnt 0x0
	s_and_not1_saveexec_b32 s9, s9
	s_cbranch_execz .LBB5_4
; %bb.3:
	s_lshl_b64 s[10:11], s[2:3], 2
	v_dual_mov_b32 v0, 0 :: v_dual_mov_b32 v1, 1.0
	s_add_nc_u64 s[2:3], s[6:7], s[10:11]
	s_add_nc_u64 s[4:5], s[4:5], s[10:11]
	s_load_b32 s6, s[2:3], 0x0
	global_store_b32 v0, v1, s[4:5]
	s_wait_kmcnt 0x0
	s_cmp_lg_u32 s6, 0
	s_cbranch_scc0 .LBB5_5
.LBB5_4:
	s_endpgm
.LBB5_5:
	s_load_b32 s0, s[0:1], 0x38
	s_wait_kmcnt 0x0
	s_add_co_i32 s0, s8, s0
	s_delay_alu instid0(SALU_CYCLE_1) | instskip(NEXT) | instid1(SALU_CYCLE_1)
	s_add_co_i32 s0, s0, 1
	v_mov_b32_e32 v1, s0
	global_store_b32 v0, v1, s[2:3]
	s_endpgm
	.section	.rodata,"a",@progbits
	.p2align	6, 0x0
	.amdhsa_kernel _ZN9rocsolver6v33100L28getf2_npvt_check_singularityIfiiPKPfEEvT0_T2_lS5_S5_lPT_PT1_S5_
		.amdhsa_group_segment_fixed_size 0
		.amdhsa_private_segment_fixed_size 0
		.amdhsa_kernarg_size 60
		.amdhsa_user_sgpr_count 2
		.amdhsa_user_sgpr_dispatch_ptr 0
		.amdhsa_user_sgpr_queue_ptr 0
		.amdhsa_user_sgpr_kernarg_segment_ptr 1
		.amdhsa_user_sgpr_dispatch_id 0
		.amdhsa_user_sgpr_kernarg_preload_length 0
		.amdhsa_user_sgpr_kernarg_preload_offset 0
		.amdhsa_user_sgpr_private_segment_size 0
		.amdhsa_wavefront_size32 1
		.amdhsa_uses_dynamic_stack 0
		.amdhsa_enable_private_segment 0
		.amdhsa_system_sgpr_workgroup_id_x 1
		.amdhsa_system_sgpr_workgroup_id_y 1
		.amdhsa_system_sgpr_workgroup_id_z 0
		.amdhsa_system_sgpr_workgroup_info 0
		.amdhsa_system_vgpr_workitem_id 0
		.amdhsa_next_free_vgpr 6
		.amdhsa_next_free_sgpr 18
		.amdhsa_named_barrier_count 0
		.amdhsa_reserve_vcc 1
		.amdhsa_float_round_mode_32 0
		.amdhsa_float_round_mode_16_64 0
		.amdhsa_float_denorm_mode_32 3
		.amdhsa_float_denorm_mode_16_64 3
		.amdhsa_fp16_overflow 0
		.amdhsa_memory_ordered 1
		.amdhsa_forward_progress 1
		.amdhsa_inst_pref_size 4
		.amdhsa_round_robin_scheduling 0
		.amdhsa_exception_fp_ieee_invalid_op 0
		.amdhsa_exception_fp_denorm_src 0
		.amdhsa_exception_fp_ieee_div_zero 0
		.amdhsa_exception_fp_ieee_overflow 0
		.amdhsa_exception_fp_ieee_underflow 0
		.amdhsa_exception_fp_ieee_inexact 0
		.amdhsa_exception_int_div_zero 0
	.end_amdhsa_kernel
	.section	.text._ZN9rocsolver6v33100L28getf2_npvt_check_singularityIfiiPKPfEEvT0_T2_lS5_S5_lPT_PT1_S5_,"axG",@progbits,_ZN9rocsolver6v33100L28getf2_npvt_check_singularityIfiiPKPfEEvT0_T2_lS5_S5_lPT_PT1_S5_,comdat
.Lfunc_end5:
	.size	_ZN9rocsolver6v33100L28getf2_npvt_check_singularityIfiiPKPfEEvT0_T2_lS5_S5_lPT_PT1_S5_, .Lfunc_end5-_ZN9rocsolver6v33100L28getf2_npvt_check_singularityIfiiPKPfEEvT0_T2_lS5_S5_lPT_PT1_S5_
                                        ; -- End function
	.set _ZN9rocsolver6v33100L28getf2_npvt_check_singularityIfiiPKPfEEvT0_T2_lS5_S5_lPT_PT1_S5_.num_vgpr, 6
	.set _ZN9rocsolver6v33100L28getf2_npvt_check_singularityIfiiPKPfEEvT0_T2_lS5_S5_lPT_PT1_S5_.num_agpr, 0
	.set _ZN9rocsolver6v33100L28getf2_npvt_check_singularityIfiiPKPfEEvT0_T2_lS5_S5_lPT_PT1_S5_.numbered_sgpr, 18
	.set _ZN9rocsolver6v33100L28getf2_npvt_check_singularityIfiiPKPfEEvT0_T2_lS5_S5_lPT_PT1_S5_.num_named_barrier, 0
	.set _ZN9rocsolver6v33100L28getf2_npvt_check_singularityIfiiPKPfEEvT0_T2_lS5_S5_lPT_PT1_S5_.private_seg_size, 0
	.set _ZN9rocsolver6v33100L28getf2_npvt_check_singularityIfiiPKPfEEvT0_T2_lS5_S5_lPT_PT1_S5_.uses_vcc, 1
	.set _ZN9rocsolver6v33100L28getf2_npvt_check_singularityIfiiPKPfEEvT0_T2_lS5_S5_lPT_PT1_S5_.uses_flat_scratch, 0
	.set _ZN9rocsolver6v33100L28getf2_npvt_check_singularityIfiiPKPfEEvT0_T2_lS5_S5_lPT_PT1_S5_.has_dyn_sized_stack, 0
	.set _ZN9rocsolver6v33100L28getf2_npvt_check_singularityIfiiPKPfEEvT0_T2_lS5_S5_lPT_PT1_S5_.has_recursion, 0
	.set _ZN9rocsolver6v33100L28getf2_npvt_check_singularityIfiiPKPfEEvT0_T2_lS5_S5_lPT_PT1_S5_.has_indirect_call, 0
	.section	.AMDGPU.csdata,"",@progbits
; Kernel info:
; codeLenInByte = 392
; TotalNumSgprs: 20
; NumVgprs: 6
; ScratchSize: 0
; MemoryBound: 0
; FloatMode: 240
; IeeeMode: 1
; LDSByteSize: 0 bytes/workgroup (compile time only)
; SGPRBlocks: 0
; VGPRBlocks: 0
; NumSGPRsForWavesPerEU: 20
; NumVGPRsForWavesPerEU: 6
; NamedBarCnt: 0
; Occupancy: 16
; WaveLimiterHint : 1
; COMPUTE_PGM_RSRC2:SCRATCH_EN: 0
; COMPUTE_PGM_RSRC2:USER_SGPR: 2
; COMPUTE_PGM_RSRC2:TRAP_HANDLER: 0
; COMPUTE_PGM_RSRC2:TGID_X_EN: 1
; COMPUTE_PGM_RSRC2:TGID_Y_EN: 1
; COMPUTE_PGM_RSRC2:TGID_Z_EN: 0
; COMPUTE_PGM_RSRC2:TIDIG_COMP_CNT: 0
	.section	.text._ZN9rocsolver6v33100L19getrf_row_permutateIfiPKPfEEvT0_S5_S5_T1_lS5_S5_lPS5_l,"axG",@progbits,_ZN9rocsolver6v33100L19getrf_row_permutateIfiPKPfEEvT0_S5_S5_T1_lS5_S5_lPS5_l,comdat
	.globl	_ZN9rocsolver6v33100L19getrf_row_permutateIfiPKPfEEvT0_S5_S5_T1_lS5_S5_lPS5_l ; -- Begin function _ZN9rocsolver6v33100L19getrf_row_permutateIfiPKPfEEvT0_S5_S5_T1_lS5_S5_lPS5_l
	.p2align	8
	.type	_ZN9rocsolver6v33100L19getrf_row_permutateIfiPKPfEEvT0_S5_S5_T1_lS5_S5_lPS5_l,@function
_ZN9rocsolver6v33100L19getrf_row_permutateIfiPKPfEEvT0_S5_S5_T1_lS5_S5_lPS5_l: ; @_ZN9rocsolver6v33100L19getrf_row_permutateIfiPKPfEEvT0_S5_S5_T1_lS5_S5_lPS5_l
; %bb.0:
	s_clause 0x1
	s_load_u16 s3, s[0:1], 0x4e
	s_load_b96 s[4:6], s[0:1], 0x0
	s_bfe_u32 s2, ttmp6, 0x40010
	s_and_b32 s7, ttmp7, 0xffff
	s_add_co_i32 s9, s2, 1
	s_bfe_u32 s8, ttmp6, 0x40004
	s_mul_i32 s9, s7, s9
	s_getreg_b32 s2, hwreg(HW_REG_IB_STS2, 6, 4)
	v_bfe_u32 v1, v0, 10, 10
	s_add_co_i32 s8, s8, s9
	s_cmp_eq_u32 s2, 0
	s_cselect_b32 s7, s7, s8
	s_wait_kmcnt 0x0
	v_mad_u32 v2, s7, s3, v1
	s_mov_b32 s3, 0
	s_delay_alu instid0(VALU_DEP_1) | instskip(SKIP_1) | instid1(VALU_DEP_1)
	v_cmp_le_i32_e32 vcc_lo, s5, v2
	v_cndmask_b32_e64 v3, 0, s6, vcc_lo
	v_add_nc_u32_e32 v2, v3, v2
	s_delay_alu instid0(VALU_DEP_1)
	v_cmp_gt_i32_e32 vcc_lo, s4, v2
	s_and_saveexec_b32 s4, vcc_lo
	s_cbranch_execz .LBB6_2
; %bb.1:
	s_add_nc_u64 s[8:9], s[0:1], 64
	s_bfe_u32 s11, ttmp6, 0x40008
	s_load_b32 s10, s[8:9], 0xc
	s_load_b128 s[4:7], s[0:1], 0x30
	s_wait_xcnt 0x0
	s_bfe_u32 s8, ttmp6, 0x40014
	s_lshr_b32 s9, ttmp7, 16
	s_add_co_i32 s8, s8, 1
	v_and_b32_e32 v0, 0x3ff, v0
	s_mul_i32 s8, s9, s8
	s_delay_alu instid0(SALU_CYCLE_1)
	s_add_co_i32 s11, s11, s8
	s_wait_kmcnt 0x0
	s_and_b32 s12, s10, 0xffff
	s_cmp_eq_u32 s2, 0
	v_mul_u32_u24_e32 v1, s12, v1
	s_cselect_b32 s2, s9, s11
	v_lshlrev_b32_e32 v6, 2, v0
	s_mul_u64 s[6:7], s[6:7], s[2:3]
	s_delay_alu instid0(SALU_CYCLE_1)
	s_lshl_b64 s[6:7], s[6:7], 2
	v_lshlrev_b32_e32 v1, 2, v1
	s_add_nc_u64 s[8:9], s[4:5], s[6:7]
	global_load_b32 v3, v0, s[8:9] scale_offset
	s_clause 0x1
	s_load_b64 s[10:11], s[0:1], 0x20
	s_load_b128 s[4:7], s[0:1], 0x10
	v_add3_u32 v1, 0, v6, v1
	s_wait_kmcnt 0x0
	v_mul_lo_u32 v2, v2, s11
	s_load_b64 s[0:1], s[4:5], s2 offset:0x0 scale_offset
	s_wait_xcnt 0x0
	s_lshl_b64 s[2:3], s[6:7], 2
	s_delay_alu instid0(VALU_DEP_1)
	v_mad_u32 v0, s10, v0, v2
	s_wait_kmcnt 0x0
	s_add_nc_u64 s[0:1], s[0:1], s[2:3]
	s_wait_loadcnt 0x0
	v_mad_u32 v4, v3, s10, v2
	global_load_b32 v3, v3, s[8:9] scale_offset
	flat_load_b32 v5, v4, s[0:1] scale_offset
	s_wait_loadcnt 0x1
	s_wait_xcnt 0x1
	v_mad_u32 v3, v3, s10, v2
	s_wait_loadcnt_dscnt 0x0
	ds_store_b32 v1, v5
	flat_load_b32 v3, v3, s[0:1] scale_offset
	s_wait_loadcnt_dscnt 0x0
	flat_store_b32 v4, v3, s[0:1] scale_offset
	s_wait_storecnt_dscnt 0x0
	s_barrier_signal -1
	s_barrier_wait -1
	ds_load_b32 v1, v1
	s_wait_dscnt 0x0
	flat_store_b32 v0, v1, s[0:1] scale_offset
.LBB6_2:
	s_endpgm
	.section	.rodata,"a",@progbits
	.p2align	6, 0x0
	.amdhsa_kernel _ZN9rocsolver6v33100L19getrf_row_permutateIfiPKPfEEvT0_S5_S5_T1_lS5_S5_lPS5_l
		.amdhsa_group_segment_fixed_size 0
		.amdhsa_private_segment_fixed_size 0
		.amdhsa_kernarg_size 320
		.amdhsa_user_sgpr_count 2
		.amdhsa_user_sgpr_dispatch_ptr 0
		.amdhsa_user_sgpr_queue_ptr 0
		.amdhsa_user_sgpr_kernarg_segment_ptr 1
		.amdhsa_user_sgpr_dispatch_id 0
		.amdhsa_user_sgpr_kernarg_preload_length 0
		.amdhsa_user_sgpr_kernarg_preload_offset 0
		.amdhsa_user_sgpr_private_segment_size 0
		.amdhsa_wavefront_size32 1
		.amdhsa_uses_dynamic_stack 0
		.amdhsa_enable_private_segment 0
		.amdhsa_system_sgpr_workgroup_id_x 1
		.amdhsa_system_sgpr_workgroup_id_y 1
		.amdhsa_system_sgpr_workgroup_id_z 1
		.amdhsa_system_sgpr_workgroup_info 0
		.amdhsa_system_vgpr_workitem_id 1
		.amdhsa_next_free_vgpr 7
		.amdhsa_next_free_sgpr 13
		.amdhsa_named_barrier_count 0
		.amdhsa_reserve_vcc 1
		.amdhsa_float_round_mode_32 0
		.amdhsa_float_round_mode_16_64 0
		.amdhsa_float_denorm_mode_32 3
		.amdhsa_float_denorm_mode_16_64 3
		.amdhsa_fp16_overflow 0
		.amdhsa_memory_ordered 1
		.amdhsa_forward_progress 1
		.amdhsa_inst_pref_size 4
		.amdhsa_round_robin_scheduling 0
		.amdhsa_exception_fp_ieee_invalid_op 0
		.amdhsa_exception_fp_denorm_src 0
		.amdhsa_exception_fp_ieee_div_zero 0
		.amdhsa_exception_fp_ieee_overflow 0
		.amdhsa_exception_fp_ieee_underflow 0
		.amdhsa_exception_fp_ieee_inexact 0
		.amdhsa_exception_int_div_zero 0
	.end_amdhsa_kernel
	.section	.text._ZN9rocsolver6v33100L19getrf_row_permutateIfiPKPfEEvT0_S5_S5_T1_lS5_S5_lPS5_l,"axG",@progbits,_ZN9rocsolver6v33100L19getrf_row_permutateIfiPKPfEEvT0_S5_S5_T1_lS5_S5_lPS5_l,comdat
.Lfunc_end6:
	.size	_ZN9rocsolver6v33100L19getrf_row_permutateIfiPKPfEEvT0_S5_S5_T1_lS5_S5_lPS5_l, .Lfunc_end6-_ZN9rocsolver6v33100L19getrf_row_permutateIfiPKPfEEvT0_S5_S5_T1_lS5_S5_lPS5_l
                                        ; -- End function
	.set _ZN9rocsolver6v33100L19getrf_row_permutateIfiPKPfEEvT0_S5_S5_T1_lS5_S5_lPS5_l.num_vgpr, 7
	.set _ZN9rocsolver6v33100L19getrf_row_permutateIfiPKPfEEvT0_S5_S5_T1_lS5_S5_lPS5_l.num_agpr, 0
	.set _ZN9rocsolver6v33100L19getrf_row_permutateIfiPKPfEEvT0_S5_S5_T1_lS5_S5_lPS5_l.numbered_sgpr, 13
	.set _ZN9rocsolver6v33100L19getrf_row_permutateIfiPKPfEEvT0_S5_S5_T1_lS5_S5_lPS5_l.num_named_barrier, 0
	.set _ZN9rocsolver6v33100L19getrf_row_permutateIfiPKPfEEvT0_S5_S5_T1_lS5_S5_lPS5_l.private_seg_size, 0
	.set _ZN9rocsolver6v33100L19getrf_row_permutateIfiPKPfEEvT0_S5_S5_T1_lS5_S5_lPS5_l.uses_vcc, 1
	.set _ZN9rocsolver6v33100L19getrf_row_permutateIfiPKPfEEvT0_S5_S5_T1_lS5_S5_lPS5_l.uses_flat_scratch, 0
	.set _ZN9rocsolver6v33100L19getrf_row_permutateIfiPKPfEEvT0_S5_S5_T1_lS5_S5_lPS5_l.has_dyn_sized_stack, 0
	.set _ZN9rocsolver6v33100L19getrf_row_permutateIfiPKPfEEvT0_S5_S5_T1_lS5_S5_lPS5_l.has_recursion, 0
	.set _ZN9rocsolver6v33100L19getrf_row_permutateIfiPKPfEEvT0_S5_S5_T1_lS5_S5_lPS5_l.has_indirect_call, 0
	.section	.AMDGPU.csdata,"",@progbits
; Kernel info:
; codeLenInByte = 464
; TotalNumSgprs: 15
; NumVgprs: 7
; ScratchSize: 0
; MemoryBound: 0
; FloatMode: 240
; IeeeMode: 1
; LDSByteSize: 0 bytes/workgroup (compile time only)
; SGPRBlocks: 0
; VGPRBlocks: 0
; NumSGPRsForWavesPerEU: 15
; NumVGPRsForWavesPerEU: 7
; NamedBarCnt: 0
; Occupancy: 16
; WaveLimiterHint : 1
; COMPUTE_PGM_RSRC2:SCRATCH_EN: 0
; COMPUTE_PGM_RSRC2:USER_SGPR: 2
; COMPUTE_PGM_RSRC2:TRAP_HANDLER: 0
; COMPUTE_PGM_RSRC2:TGID_X_EN: 1
; COMPUTE_PGM_RSRC2:TGID_Y_EN: 1
; COMPUTE_PGM_RSRC2:TGID_Z_EN: 1
; COMPUTE_PGM_RSRC2:TIDIG_COMP_CNT: 1
	.section	.text._ZN9rocsolver6v33100L12laswp_kernelIfiPKPfEEvT0_T1_lS5_S5_lS5_S5_PKS5_lS5_l,"axG",@progbits,_ZN9rocsolver6v33100L12laswp_kernelIfiPKPfEEvT0_T1_lS5_S5_lS5_S5_PKS5_lS5_l,comdat
	.globl	_ZN9rocsolver6v33100L12laswp_kernelIfiPKPfEEvT0_T1_lS5_S5_lS5_S5_PKS5_lS5_l ; -- Begin function _ZN9rocsolver6v33100L12laswp_kernelIfiPKPfEEvT0_T1_lS5_S5_lS5_S5_PKS5_lS5_l
	.p2align	8
	.type	_ZN9rocsolver6v33100L12laswp_kernelIfiPKPfEEvT0_T1_lS5_S5_lS5_S5_PKS5_lS5_l,@function
_ZN9rocsolver6v33100L12laswp_kernelIfiPKPfEEvT0_T1_lS5_S5_lS5_S5_PKS5_lS5_l: ; @_ZN9rocsolver6v33100L12laswp_kernelIfiPKPfEEvT0_T1_lS5_S5_lS5_S5_PKS5_lS5_l
; %bb.0:
	s_clause 0x1
	s_load_b32 s2, s[0:1], 0x5c
	s_load_b32 s3, s[0:1], 0x0
	s_bfe_u32 s4, ttmp6, 0x4000c
	s_and_b32 s5, ttmp6, 15
	s_add_co_i32 s6, s4, 1
	s_getreg_b32 s4, hwreg(HW_REG_IB_STS2, 6, 4)
	s_mul_i32 s6, ttmp9, s6
	s_delay_alu instid0(SALU_CYCLE_1) | instskip(SKIP_4) | instid1(SALU_CYCLE_1)
	s_add_co_i32 s5, s5, s6
	s_wait_kmcnt 0x0
	s_and_b32 s2, s2, 0xffff
	s_cmp_eq_u32 s4, 0
	s_cselect_b32 s5, ttmp9, s5
	v_mad_u32 v0, s5, s2, v0
	s_mov_b32 s2, exec_lo
	s_delay_alu instid0(VALU_DEP_1)
	v_cmpx_gt_i32_e64 s3, v0
	s_cbranch_execz .LBB7_10
; %bb.1:
	s_clause 0x1
	s_load_b32 s11, s[0:1], 0x40
	s_load_b64 s[2:3], s[0:1], 0x28
	s_bfe_u32 s5, ttmp6, 0x40010
	s_bfe_u32 s6, ttmp6, 0x40004
	s_add_co_i32 s5, s5, 1
	s_delay_alu instid0(SALU_CYCLE_1) | instskip(NEXT) | instid1(SALU_CYCLE_1)
	s_mul_i32 s5, ttmp7, s5
	s_add_co_i32 s6, s6, s5
	s_cmp_eq_u32 s4, 0
	s_cselect_b32 s4, ttmp7, s6
	s_wait_kmcnt 0x0
	s_cmp_gt_i32 s11, -1
	s_cbranch_scc0 .LBB7_3
; %bb.2:
	s_add_co_i32 s8, s3, 1
	s_mov_b32 s9, 1
	s_mov_b32 s10, s2
	s_cbranch_execz .LBB7_4
	s_branch .LBB7_5
.LBB7_3:
                                        ; implicit-def: $sgpr8
	s_mov_b32 s9, 1
	s_mov_b32 s10, s2
.LBB7_4:
	s_mov_b32 s9, -1
	s_add_co_i32 s8, s2, -1
	s_sub_co_i32 s11, 0, s11
	s_mov_b32 s10, s3
.LBB7_5:
	s_delay_alu instid0(SALU_CYCLE_1)
	s_cmp_eq_u32 s10, s8
	s_cbranch_scc1 .LBB7_10
; %bb.6:
	s_clause 0x3
	s_load_b128 s[12:15], s[0:1], 0x8
	s_load_b64 s[6:7], s[0:1], 0x18
	s_load_b128 s[16:19], s[0:1], 0x30
	s_load_b64 s[20:21], s[0:1], 0x48
	s_ashr_i32 s5, s4, 31
	s_wait_xcnt 0x0
	s_lshl_b64 s[0:1], s[4:5], 3
	s_wait_kmcnt 0x0
	s_add_nc_u64 s[0:1], s[12:13], s[0:1]
	v_mul_lo_u32 v0, v0, s7
	s_load_b64 s[12:13], s[0:1], 0x0
	s_wait_xcnt 0x0
	s_add_co_i32 s1, s10, -1
	s_sub_co_i32 s0, s10, s2
	s_lshl_b64 s[14:15], s[14:15], 2
	s_mul_i32 s0, s11, s0
	s_mul_i32 s7, s9, s6
	s_add_co_i32 s0, s2, s0
	s_mul_u64 s[2:3], s[20:21], s[4:5]
	s_lshl_b64 s[4:5], s[18:19], 2
	s_lshl_b64 s[2:3], s[2:3], 2
	v_mad_u32 v1, s6, s1, v0
	s_add_nc_u64 s[2:3], s[16:17], s[2:3]
	s_mul_i32 s11, s11, s9
	s_add_nc_u64 s[2:3], s[2:3], s[4:5]
	s_wait_kmcnt 0x0
	s_add_nc_u64 s[4:5], s[12:13], s[14:15]
	s_branch .LBB7_8
.LBB7_7:                                ;   in Loop: Header=BB7_8 Depth=1
	s_wait_xcnt 0x0
	v_add_nc_u32_e32 v1, s7, v1
	s_add_co_i32 s10, s10, s9
	s_add_co_i32 s0, s0, s11
	s_cmp_lg_u32 s8, s10
	s_cbranch_scc0 .LBB7_10
.LBB7_8:                                ; =>This Inner Loop Header: Depth=1
	s_ashr_i32 s1, s0, 31
	s_delay_alu instid0(SALU_CYCLE_1) | instskip(NEXT) | instid1(SALU_CYCLE_1)
	s_lshl_b64 s[12:13], s[0:1], 2
	s_add_nc_u64 s[12:13], s[2:3], s[12:13]
	s_delay_alu instid0(SALU_CYCLE_1)
	s_add_nc_u64 s[12:13], s[12:13], -4
	s_load_b32 s1, s[12:13], 0x0
	s_wait_kmcnt 0x0
	s_cmp_eq_u32 s10, s1
	s_cbranch_scc1 .LBB7_7
; %bb.9:                                ;   in Loop: Header=BB7_8 Depth=1
	s_add_co_i32 s1, s1, -1
	s_delay_alu instid0(SALU_CYCLE_1)
	v_mad_u32 v2, s1, s6, v0
	s_clause 0x1
	flat_load_b32 v3, v2, s[4:5] scale_offset
	flat_load_b32 v4, v1, s[4:5] scale_offset
	s_wait_loadcnt_dscnt 0x101
	flat_store_b32 v1, v3, s[4:5] scale_offset
	s_wait_loadcnt_dscnt 0x1
	flat_store_b32 v2, v4, s[4:5] scale_offset
	s_branch .LBB7_7
.LBB7_10:
	s_endpgm
	.section	.rodata,"a",@progbits
	.p2align	6, 0x0
	.amdhsa_kernel _ZN9rocsolver6v33100L12laswp_kernelIfiPKPfEEvT0_T1_lS5_S5_lS5_S5_PKS5_lS5_l
		.amdhsa_group_segment_fixed_size 0
		.amdhsa_private_segment_fixed_size 0
		.amdhsa_kernarg_size 336
		.amdhsa_user_sgpr_count 2
		.amdhsa_user_sgpr_dispatch_ptr 0
		.amdhsa_user_sgpr_queue_ptr 0
		.amdhsa_user_sgpr_kernarg_segment_ptr 1
		.amdhsa_user_sgpr_dispatch_id 0
		.amdhsa_user_sgpr_kernarg_preload_length 0
		.amdhsa_user_sgpr_kernarg_preload_offset 0
		.amdhsa_user_sgpr_private_segment_size 0
		.amdhsa_wavefront_size32 1
		.amdhsa_uses_dynamic_stack 0
		.amdhsa_enable_private_segment 0
		.amdhsa_system_sgpr_workgroup_id_x 1
		.amdhsa_system_sgpr_workgroup_id_y 1
		.amdhsa_system_sgpr_workgroup_id_z 0
		.amdhsa_system_sgpr_workgroup_info 0
		.amdhsa_system_vgpr_workitem_id 0
		.amdhsa_next_free_vgpr 5
		.amdhsa_next_free_sgpr 22
		.amdhsa_named_barrier_count 0
		.amdhsa_reserve_vcc 0
		.amdhsa_float_round_mode_32 0
		.amdhsa_float_round_mode_16_64 0
		.amdhsa_float_denorm_mode_32 3
		.amdhsa_float_denorm_mode_16_64 3
		.amdhsa_fp16_overflow 0
		.amdhsa_memory_ordered 1
		.amdhsa_forward_progress 1
		.amdhsa_inst_pref_size 5
		.amdhsa_round_robin_scheduling 0
		.amdhsa_exception_fp_ieee_invalid_op 0
		.amdhsa_exception_fp_denorm_src 0
		.amdhsa_exception_fp_ieee_div_zero 0
		.amdhsa_exception_fp_ieee_overflow 0
		.amdhsa_exception_fp_ieee_underflow 0
		.amdhsa_exception_fp_ieee_inexact 0
		.amdhsa_exception_int_div_zero 0
	.end_amdhsa_kernel
	.section	.text._ZN9rocsolver6v33100L12laswp_kernelIfiPKPfEEvT0_T1_lS5_S5_lS5_S5_PKS5_lS5_l,"axG",@progbits,_ZN9rocsolver6v33100L12laswp_kernelIfiPKPfEEvT0_T1_lS5_S5_lS5_S5_PKS5_lS5_l,comdat
.Lfunc_end7:
	.size	_ZN9rocsolver6v33100L12laswp_kernelIfiPKPfEEvT0_T1_lS5_S5_lS5_S5_PKS5_lS5_l, .Lfunc_end7-_ZN9rocsolver6v33100L12laswp_kernelIfiPKPfEEvT0_T1_lS5_S5_lS5_S5_PKS5_lS5_l
                                        ; -- End function
	.set _ZN9rocsolver6v33100L12laswp_kernelIfiPKPfEEvT0_T1_lS5_S5_lS5_S5_PKS5_lS5_l.num_vgpr, 5
	.set _ZN9rocsolver6v33100L12laswp_kernelIfiPKPfEEvT0_T1_lS5_S5_lS5_S5_PKS5_lS5_l.num_agpr, 0
	.set _ZN9rocsolver6v33100L12laswp_kernelIfiPKPfEEvT0_T1_lS5_S5_lS5_S5_PKS5_lS5_l.numbered_sgpr, 22
	.set _ZN9rocsolver6v33100L12laswp_kernelIfiPKPfEEvT0_T1_lS5_S5_lS5_S5_PKS5_lS5_l.num_named_barrier, 0
	.set _ZN9rocsolver6v33100L12laswp_kernelIfiPKPfEEvT0_T1_lS5_S5_lS5_S5_PKS5_lS5_l.private_seg_size, 0
	.set _ZN9rocsolver6v33100L12laswp_kernelIfiPKPfEEvT0_T1_lS5_S5_lS5_S5_PKS5_lS5_l.uses_vcc, 0
	.set _ZN9rocsolver6v33100L12laswp_kernelIfiPKPfEEvT0_T1_lS5_S5_lS5_S5_PKS5_lS5_l.uses_flat_scratch, 1
	.set _ZN9rocsolver6v33100L12laswp_kernelIfiPKPfEEvT0_T1_lS5_S5_lS5_S5_PKS5_lS5_l.has_dyn_sized_stack, 0
	.set _ZN9rocsolver6v33100L12laswp_kernelIfiPKPfEEvT0_T1_lS5_S5_lS5_S5_PKS5_lS5_l.has_recursion, 0
	.set _ZN9rocsolver6v33100L12laswp_kernelIfiPKPfEEvT0_T1_lS5_S5_lS5_S5_PKS5_lS5_l.has_indirect_call, 0
	.section	.AMDGPU.csdata,"",@progbits
; Kernel info:
; codeLenInByte = 524
; TotalNumSgprs: 22
; NumVgprs: 5
; ScratchSize: 0
; MemoryBound: 0
; FloatMode: 240
; IeeeMode: 1
; LDSByteSize: 0 bytes/workgroup (compile time only)
; SGPRBlocks: 0
; VGPRBlocks: 0
; NumSGPRsForWavesPerEU: 22
; NumVGPRsForWavesPerEU: 5
; NamedBarCnt: 0
; Occupancy: 16
; WaveLimiterHint : 1
; COMPUTE_PGM_RSRC2:SCRATCH_EN: 0
; COMPUTE_PGM_RSRC2:USER_SGPR: 2
; COMPUTE_PGM_RSRC2:TRAP_HANDLER: 0
; COMPUTE_PGM_RSRC2:TGID_X_EN: 1
; COMPUTE_PGM_RSRC2:TGID_Y_EN: 1
; COMPUTE_PGM_RSRC2:TGID_Z_EN: 0
; COMPUTE_PGM_RSRC2:TIDIG_COMP_CNT: 0
	.section	.text._ZN9rocsolver6v33100L20geblttrf_update_infoIiEEvPT_S3_ii,"axG",@progbits,_ZN9rocsolver6v33100L20geblttrf_update_infoIiEEvPT_S3_ii,comdat
	.globl	_ZN9rocsolver6v33100L20geblttrf_update_infoIiEEvPT_S3_ii ; -- Begin function _ZN9rocsolver6v33100L20geblttrf_update_infoIiEEvPT_S3_ii
	.p2align	8
	.type	_ZN9rocsolver6v33100L20geblttrf_update_infoIiEEvPT_S3_ii,@function
_ZN9rocsolver6v33100L20geblttrf_update_infoIiEEvPT_S3_ii: ; @_ZN9rocsolver6v33100L20geblttrf_update_infoIiEEvPT_S3_ii
; %bb.0:
	s_clause 0x1
	s_load_b32 s2, s[0:1], 0x24
	s_load_b64 s[4:5], s[0:1], 0x10
	s_bfe_u32 s3, ttmp6, 0x4000c
	s_and_b32 s6, ttmp6, 15
	s_add_co_i32 s3, s3, 1
	s_getreg_b32 s7, hwreg(HW_REG_IB_STS2, 6, 4)
	s_mul_i32 s3, ttmp9, s3
	s_delay_alu instid0(SALU_CYCLE_1) | instskip(SKIP_4) | instid1(SALU_CYCLE_1)
	s_add_co_i32 s6, s6, s3
	s_wait_kmcnt 0x0
	s_and_b32 s2, s2, 0xffff
	s_cmp_eq_u32 s7, 0
	s_cselect_b32 s3, ttmp9, s6
	v_mad_u32 v0, s3, s2, v0
	s_mov_b32 s2, exec_lo
	s_delay_alu instid0(VALU_DEP_1)
	v_cmpx_gt_i32_e64 s5, v0
	s_cbranch_execz .LBB8_4
; %bb.1:
	s_load_b128 s[0:3], s[0:1], 0x0
	s_wait_kmcnt 0x0
	global_load_b32 v1, v0, s[0:1] scale_offset
	s_wait_loadcnt 0x0
	v_cmp_eq_u32_e32 vcc_lo, 0, v1
	s_and_b32 exec_lo, exec_lo, vcc_lo
	s_cbranch_execz .LBB8_4
; %bb.2:
	v_ashrrev_i32_e32 v1, 31, v0
	s_delay_alu instid0(VALU_DEP_1)
	v_lshl_add_u64 v[2:3], v[0:1], 2, s[2:3]
	global_load_b32 v2, v[2:3], off
	s_wait_loadcnt 0x0
	v_cmp_ne_u32_e32 vcc_lo, 0, v2
	s_and_b32 exec_lo, exec_lo, vcc_lo
	s_cbranch_execz .LBB8_4
; %bb.3:
	v_lshl_add_u64 v[0:1], v[0:1], 2, s[0:1]
	v_add_nc_u32_e32 v2, s4, v2
	global_store_b32 v[0:1], v2, off
.LBB8_4:
	s_endpgm
	.section	.rodata,"a",@progbits
	.p2align	6, 0x0
	.amdhsa_kernel _ZN9rocsolver6v33100L20geblttrf_update_infoIiEEvPT_S3_ii
		.amdhsa_group_segment_fixed_size 0
		.amdhsa_private_segment_fixed_size 0
		.amdhsa_kernarg_size 280
		.amdhsa_user_sgpr_count 2
		.amdhsa_user_sgpr_dispatch_ptr 0
		.amdhsa_user_sgpr_queue_ptr 0
		.amdhsa_user_sgpr_kernarg_segment_ptr 1
		.amdhsa_user_sgpr_dispatch_id 0
		.amdhsa_user_sgpr_kernarg_preload_length 0
		.amdhsa_user_sgpr_kernarg_preload_offset 0
		.amdhsa_user_sgpr_private_segment_size 0
		.amdhsa_wavefront_size32 1
		.amdhsa_uses_dynamic_stack 0
		.amdhsa_enable_private_segment 0
		.amdhsa_system_sgpr_workgroup_id_x 1
		.amdhsa_system_sgpr_workgroup_id_y 0
		.amdhsa_system_sgpr_workgroup_id_z 0
		.amdhsa_system_sgpr_workgroup_info 0
		.amdhsa_system_vgpr_workitem_id 0
		.amdhsa_next_free_vgpr 4
		.amdhsa_next_free_sgpr 8
		.amdhsa_named_barrier_count 0
		.amdhsa_reserve_vcc 1
		.amdhsa_float_round_mode_32 0
		.amdhsa_float_round_mode_16_64 0
		.amdhsa_float_denorm_mode_32 3
		.amdhsa_float_denorm_mode_16_64 3
		.amdhsa_fp16_overflow 0
		.amdhsa_memory_ordered 1
		.amdhsa_forward_progress 1
		.amdhsa_inst_pref_size 2
		.amdhsa_round_robin_scheduling 0
		.amdhsa_exception_fp_ieee_invalid_op 0
		.amdhsa_exception_fp_denorm_src 0
		.amdhsa_exception_fp_ieee_div_zero 0
		.amdhsa_exception_fp_ieee_overflow 0
		.amdhsa_exception_fp_ieee_underflow 0
		.amdhsa_exception_fp_ieee_inexact 0
		.amdhsa_exception_int_div_zero 0
	.end_amdhsa_kernel
	.section	.text._ZN9rocsolver6v33100L20geblttrf_update_infoIiEEvPT_S3_ii,"axG",@progbits,_ZN9rocsolver6v33100L20geblttrf_update_infoIiEEvPT_S3_ii,comdat
.Lfunc_end8:
	.size	_ZN9rocsolver6v33100L20geblttrf_update_infoIiEEvPT_S3_ii, .Lfunc_end8-_ZN9rocsolver6v33100L20geblttrf_update_infoIiEEvPT_S3_ii
                                        ; -- End function
	.set _ZN9rocsolver6v33100L20geblttrf_update_infoIiEEvPT_S3_ii.num_vgpr, 4
	.set _ZN9rocsolver6v33100L20geblttrf_update_infoIiEEvPT_S3_ii.num_agpr, 0
	.set _ZN9rocsolver6v33100L20geblttrf_update_infoIiEEvPT_S3_ii.numbered_sgpr, 8
	.set _ZN9rocsolver6v33100L20geblttrf_update_infoIiEEvPT_S3_ii.num_named_barrier, 0
	.set _ZN9rocsolver6v33100L20geblttrf_update_infoIiEEvPT_S3_ii.private_seg_size, 0
	.set _ZN9rocsolver6v33100L20geblttrf_update_infoIiEEvPT_S3_ii.uses_vcc, 1
	.set _ZN9rocsolver6v33100L20geblttrf_update_infoIiEEvPT_S3_ii.uses_flat_scratch, 0
	.set _ZN9rocsolver6v33100L20geblttrf_update_infoIiEEvPT_S3_ii.has_dyn_sized_stack, 0
	.set _ZN9rocsolver6v33100L20geblttrf_update_infoIiEEvPT_S3_ii.has_recursion, 0
	.set _ZN9rocsolver6v33100L20geblttrf_update_infoIiEEvPT_S3_ii.has_indirect_call, 0
	.section	.AMDGPU.csdata,"",@progbits
; Kernel info:
; codeLenInByte = 212
; TotalNumSgprs: 10
; NumVgprs: 4
; ScratchSize: 0
; MemoryBound: 0
; FloatMode: 240
; IeeeMode: 1
; LDSByteSize: 0 bytes/workgroup (compile time only)
; SGPRBlocks: 0
; VGPRBlocks: 0
; NumSGPRsForWavesPerEU: 10
; NumVGPRsForWavesPerEU: 4
; NamedBarCnt: 0
; Occupancy: 16
; WaveLimiterHint : 0
; COMPUTE_PGM_RSRC2:SCRATCH_EN: 0
; COMPUTE_PGM_RSRC2:USER_SGPR: 2
; COMPUTE_PGM_RSRC2:TRAP_HANDLER: 0
; COMPUTE_PGM_RSRC2:TGID_X_EN: 1
; COMPUTE_PGM_RSRC2:TGID_Y_EN: 0
; COMPUTE_PGM_RSRC2:TGID_Z_EN: 0
; COMPUTE_PGM_RSRC2:TIDIG_COMP_CNT: 0
	.section	.text._ZN9rocsolver6v33100L6iota_nIdEEvPT_jS2_,"axG",@progbits,_ZN9rocsolver6v33100L6iota_nIdEEvPT_jS2_,comdat
	.globl	_ZN9rocsolver6v33100L6iota_nIdEEvPT_jS2_ ; -- Begin function _ZN9rocsolver6v33100L6iota_nIdEEvPT_jS2_
	.p2align	8
	.type	_ZN9rocsolver6v33100L6iota_nIdEEvPT_jS2_,@function
_ZN9rocsolver6v33100L6iota_nIdEEvPT_jS2_: ; @_ZN9rocsolver6v33100L6iota_nIdEEvPT_jS2_
; %bb.0:
	s_load_b32 s2, s[0:1], 0x8
	s_wait_kmcnt 0x0
	v_cmp_gt_u32_e32 vcc_lo, s2, v0
	s_and_saveexec_b32 s2, vcc_lo
	s_cbranch_execz .LBB9_2
; %bb.1:
	v_cvt_f64_u32_e32 v[2:3], v0
	s_load_b64 s[2:3], s[0:1], 0x10
	s_wait_kmcnt 0x0
	s_delay_alu instid0(VALU_DEP_1)
	v_add_f64_e32 v[2:3], s[2:3], v[2:3]
	s_load_b64 s[0:1], s[0:1], 0x0
	s_wait_kmcnt 0x0
	global_store_b64 v0, v[2:3], s[0:1] scale_offset
.LBB9_2:
	s_endpgm
	.section	.rodata,"a",@progbits
	.p2align	6, 0x0
	.amdhsa_kernel _ZN9rocsolver6v33100L6iota_nIdEEvPT_jS2_
		.amdhsa_group_segment_fixed_size 0
		.amdhsa_private_segment_fixed_size 0
		.amdhsa_kernarg_size 24
		.amdhsa_user_sgpr_count 2
		.amdhsa_user_sgpr_dispatch_ptr 0
		.amdhsa_user_sgpr_queue_ptr 0
		.amdhsa_user_sgpr_kernarg_segment_ptr 1
		.amdhsa_user_sgpr_dispatch_id 0
		.amdhsa_user_sgpr_kernarg_preload_length 0
		.amdhsa_user_sgpr_kernarg_preload_offset 0
		.amdhsa_user_sgpr_private_segment_size 0
		.amdhsa_wavefront_size32 1
		.amdhsa_uses_dynamic_stack 0
		.amdhsa_enable_private_segment 0
		.amdhsa_system_sgpr_workgroup_id_x 1
		.amdhsa_system_sgpr_workgroup_id_y 0
		.amdhsa_system_sgpr_workgroup_id_z 0
		.amdhsa_system_sgpr_workgroup_info 0
		.amdhsa_system_vgpr_workitem_id 0
		.amdhsa_next_free_vgpr 4
		.amdhsa_next_free_sgpr 4
		.amdhsa_named_barrier_count 0
		.amdhsa_reserve_vcc 1
		.amdhsa_float_round_mode_32 0
		.amdhsa_float_round_mode_16_64 0
		.amdhsa_float_denorm_mode_32 3
		.amdhsa_float_denorm_mode_16_64 3
		.amdhsa_fp16_overflow 0
		.amdhsa_memory_ordered 1
		.amdhsa_forward_progress 1
		.amdhsa_inst_pref_size 1
		.amdhsa_round_robin_scheduling 0
		.amdhsa_exception_fp_ieee_invalid_op 0
		.amdhsa_exception_fp_denorm_src 0
		.amdhsa_exception_fp_ieee_div_zero 0
		.amdhsa_exception_fp_ieee_overflow 0
		.amdhsa_exception_fp_ieee_underflow 0
		.amdhsa_exception_fp_ieee_inexact 0
		.amdhsa_exception_int_div_zero 0
	.end_amdhsa_kernel
	.section	.text._ZN9rocsolver6v33100L6iota_nIdEEvPT_jS2_,"axG",@progbits,_ZN9rocsolver6v33100L6iota_nIdEEvPT_jS2_,comdat
.Lfunc_end9:
	.size	_ZN9rocsolver6v33100L6iota_nIdEEvPT_jS2_, .Lfunc_end9-_ZN9rocsolver6v33100L6iota_nIdEEvPT_jS2_
                                        ; -- End function
	.set _ZN9rocsolver6v33100L6iota_nIdEEvPT_jS2_.num_vgpr, 4
	.set _ZN9rocsolver6v33100L6iota_nIdEEvPT_jS2_.num_agpr, 0
	.set _ZN9rocsolver6v33100L6iota_nIdEEvPT_jS2_.numbered_sgpr, 4
	.set _ZN9rocsolver6v33100L6iota_nIdEEvPT_jS2_.num_named_barrier, 0
	.set _ZN9rocsolver6v33100L6iota_nIdEEvPT_jS2_.private_seg_size, 0
	.set _ZN9rocsolver6v33100L6iota_nIdEEvPT_jS2_.uses_vcc, 1
	.set _ZN9rocsolver6v33100L6iota_nIdEEvPT_jS2_.uses_flat_scratch, 0
	.set _ZN9rocsolver6v33100L6iota_nIdEEvPT_jS2_.has_dyn_sized_stack, 0
	.set _ZN9rocsolver6v33100L6iota_nIdEEvPT_jS2_.has_recursion, 0
	.set _ZN9rocsolver6v33100L6iota_nIdEEvPT_jS2_.has_indirect_call, 0
	.section	.AMDGPU.csdata,"",@progbits
; Kernel info:
; codeLenInByte = 76
; TotalNumSgprs: 6
; NumVgprs: 4
; ScratchSize: 0
; MemoryBound: 0
; FloatMode: 240
; IeeeMode: 1
; LDSByteSize: 0 bytes/workgroup (compile time only)
; SGPRBlocks: 0
; VGPRBlocks: 0
; NumSGPRsForWavesPerEU: 6
; NumVGPRsForWavesPerEU: 4
; NamedBarCnt: 0
; Occupancy: 16
; WaveLimiterHint : 0
; COMPUTE_PGM_RSRC2:SCRATCH_EN: 0
; COMPUTE_PGM_RSRC2:USER_SGPR: 2
; COMPUTE_PGM_RSRC2:TRAP_HANDLER: 0
; COMPUTE_PGM_RSRC2:TGID_X_EN: 1
; COMPUTE_PGM_RSRC2:TGID_Y_EN: 0
; COMPUTE_PGM_RSRC2:TGID_Z_EN: 0
; COMPUTE_PGM_RSRC2:TIDIG_COMP_CNT: 0
	.section	.text._ZN9rocsolver6v33100L17getf2_permut_initIdiEEvT0_PS2_l,"axG",@progbits,_ZN9rocsolver6v33100L17getf2_permut_initIdiEEvT0_PS2_l,comdat
	.globl	_ZN9rocsolver6v33100L17getf2_permut_initIdiEEvT0_PS2_l ; -- Begin function _ZN9rocsolver6v33100L17getf2_permut_initIdiEEvT0_PS2_l
	.p2align	8
	.type	_ZN9rocsolver6v33100L17getf2_permut_initIdiEEvT0_PS2_l,@function
_ZN9rocsolver6v33100L17getf2_permut_initIdiEEvT0_PS2_l: ; @_ZN9rocsolver6v33100L17getf2_permut_initIdiEEvT0_PS2_l
; %bb.0:
	s_clause 0x1
	s_load_b32 s3, s[0:1], 0x24
	s_load_b32 s4, s[0:1], 0x0
	s_bfe_u32 s2, ttmp6, 0x4000c
	s_and_b32 s5, ttmp6, 15
	s_add_co_i32 s6, s2, 1
	s_getreg_b32 s2, hwreg(HW_REG_IB_STS2, 6, 4)
	s_mul_i32 s6, ttmp9, s6
	s_delay_alu instid0(SALU_CYCLE_1) | instskip(SKIP_4) | instid1(SALU_CYCLE_1)
	s_add_co_i32 s5, s5, s6
	s_wait_kmcnt 0x0
	s_and_b32 s3, s3, 0xffff
	s_cmp_eq_u32 s2, 0
	s_cselect_b32 s5, ttmp9, s5
	v_mad_u32 v0, s5, s3, v0
	s_mov_b32 s3, exec_lo
	s_delay_alu instid0(VALU_DEP_1)
	v_cmpx_gt_i32_e64 s4, v0
	s_cbranch_execz .LBB10_2
; %bb.1:
	s_load_b128 s[4:7], s[0:1], 0x8
	s_wait_xcnt 0x0
	s_bfe_u32 s0, ttmp6, 0x40010
	s_bfe_u32 s1, ttmp6, 0x40004
	s_add_co_i32 s0, s0, 1
	s_delay_alu instid0(SALU_CYCLE_1) | instskip(NEXT) | instid1(SALU_CYCLE_1)
	s_mul_i32 s0, ttmp7, s0
	s_add_co_i32 s1, s1, s0
	s_cmp_eq_u32 s2, 0
	s_cselect_b32 s0, ttmp7, s1
	s_delay_alu instid0(SALU_CYCLE_1) | instskip(SKIP_2) | instid1(SALU_CYCLE_1)
	s_ashr_i32 s1, s0, 31
	s_wait_kmcnt 0x0
	s_mul_u64 s[0:1], s[6:7], s[0:1]
	s_lshl_b64 s[0:1], s[0:1], 2
	s_delay_alu instid0(SALU_CYCLE_1)
	s_add_nc_u64 s[0:1], s[4:5], s[0:1]
	global_store_b32 v0, v0, s[0:1] scale_offset
.LBB10_2:
	s_endpgm
	.section	.rodata,"a",@progbits
	.p2align	6, 0x0
	.amdhsa_kernel _ZN9rocsolver6v33100L17getf2_permut_initIdiEEvT0_PS2_l
		.amdhsa_group_segment_fixed_size 0
		.amdhsa_private_segment_fixed_size 0
		.amdhsa_kernarg_size 280
		.amdhsa_user_sgpr_count 2
		.amdhsa_user_sgpr_dispatch_ptr 0
		.amdhsa_user_sgpr_queue_ptr 0
		.amdhsa_user_sgpr_kernarg_segment_ptr 1
		.amdhsa_user_sgpr_dispatch_id 0
		.amdhsa_user_sgpr_kernarg_preload_length 0
		.amdhsa_user_sgpr_kernarg_preload_offset 0
		.amdhsa_user_sgpr_private_segment_size 0
		.amdhsa_wavefront_size32 1
		.amdhsa_uses_dynamic_stack 0
		.amdhsa_enable_private_segment 0
		.amdhsa_system_sgpr_workgroup_id_x 1
		.amdhsa_system_sgpr_workgroup_id_y 1
		.amdhsa_system_sgpr_workgroup_id_z 0
		.amdhsa_system_sgpr_workgroup_info 0
		.amdhsa_system_vgpr_workitem_id 0
		.amdhsa_next_free_vgpr 1
		.amdhsa_next_free_sgpr 8
		.amdhsa_named_barrier_count 0
		.amdhsa_reserve_vcc 0
		.amdhsa_float_round_mode_32 0
		.amdhsa_float_round_mode_16_64 0
		.amdhsa_float_denorm_mode_32 3
		.amdhsa_float_denorm_mode_16_64 3
		.amdhsa_fp16_overflow 0
		.amdhsa_memory_ordered 1
		.amdhsa_forward_progress 1
		.amdhsa_inst_pref_size 2
		.amdhsa_round_robin_scheduling 0
		.amdhsa_exception_fp_ieee_invalid_op 0
		.amdhsa_exception_fp_denorm_src 0
		.amdhsa_exception_fp_ieee_div_zero 0
		.amdhsa_exception_fp_ieee_overflow 0
		.amdhsa_exception_fp_ieee_underflow 0
		.amdhsa_exception_fp_ieee_inexact 0
		.amdhsa_exception_int_div_zero 0
	.end_amdhsa_kernel
	.section	.text._ZN9rocsolver6v33100L17getf2_permut_initIdiEEvT0_PS2_l,"axG",@progbits,_ZN9rocsolver6v33100L17getf2_permut_initIdiEEvT0_PS2_l,comdat
.Lfunc_end10:
	.size	_ZN9rocsolver6v33100L17getf2_permut_initIdiEEvT0_PS2_l, .Lfunc_end10-_ZN9rocsolver6v33100L17getf2_permut_initIdiEEvT0_PS2_l
                                        ; -- End function
	.set _ZN9rocsolver6v33100L17getf2_permut_initIdiEEvT0_PS2_l.num_vgpr, 1
	.set _ZN9rocsolver6v33100L17getf2_permut_initIdiEEvT0_PS2_l.num_agpr, 0
	.set _ZN9rocsolver6v33100L17getf2_permut_initIdiEEvT0_PS2_l.numbered_sgpr, 8
	.set _ZN9rocsolver6v33100L17getf2_permut_initIdiEEvT0_PS2_l.num_named_barrier, 0
	.set _ZN9rocsolver6v33100L17getf2_permut_initIdiEEvT0_PS2_l.private_seg_size, 0
	.set _ZN9rocsolver6v33100L17getf2_permut_initIdiEEvT0_PS2_l.uses_vcc, 0
	.set _ZN9rocsolver6v33100L17getf2_permut_initIdiEEvT0_PS2_l.uses_flat_scratch, 0
	.set _ZN9rocsolver6v33100L17getf2_permut_initIdiEEvT0_PS2_l.has_dyn_sized_stack, 0
	.set _ZN9rocsolver6v33100L17getf2_permut_initIdiEEvT0_PS2_l.has_recursion, 0
	.set _ZN9rocsolver6v33100L17getf2_permut_initIdiEEvT0_PS2_l.has_indirect_call, 0
	.section	.AMDGPU.csdata,"",@progbits
; Kernel info:
; codeLenInByte = 196
; TotalNumSgprs: 8
; NumVgprs: 1
; ScratchSize: 0
; MemoryBound: 0
; FloatMode: 240
; IeeeMode: 1
; LDSByteSize: 0 bytes/workgroup (compile time only)
; SGPRBlocks: 0
; VGPRBlocks: 0
; NumSGPRsForWavesPerEU: 8
; NumVGPRsForWavesPerEU: 1
; NamedBarCnt: 0
; Occupancy: 16
; WaveLimiterHint : 0
; COMPUTE_PGM_RSRC2:SCRATCH_EN: 0
; COMPUTE_PGM_RSRC2:USER_SGPR: 2
; COMPUTE_PGM_RSRC2:TRAP_HANDLER: 0
; COMPUTE_PGM_RSRC2:TGID_X_EN: 1
; COMPUTE_PGM_RSRC2:TGID_Y_EN: 1
; COMPUTE_PGM_RSRC2:TGID_Z_EN: 0
; COMPUTE_PGM_RSRC2:TIDIG_COMP_CNT: 0
	.section	.text._ZN9rocsolver6v33100L11getf2_iamaxIdiPKPdEEvT0_T1_lS5_lPS5_,"axG",@progbits,_ZN9rocsolver6v33100L11getf2_iamaxIdiPKPdEEvT0_T1_lS5_lPS5_,comdat
	.globl	_ZN9rocsolver6v33100L11getf2_iamaxIdiPKPdEEvT0_T1_lS5_lPS5_ ; -- Begin function _ZN9rocsolver6v33100L11getf2_iamaxIdiPKPdEEvT0_T1_lS5_lPS5_
	.p2align	8
	.type	_ZN9rocsolver6v33100L11getf2_iamaxIdiPKPdEEvT0_T1_lS5_lPS5_,@function
_ZN9rocsolver6v33100L11getf2_iamaxIdiPKPdEEvT0_T1_lS5_lPS5_: ; @_ZN9rocsolver6v33100L11getf2_iamaxIdiPKPdEEvT0_T1_lS5_lPS5_
; %bb.0:
	s_load_b32 s3, s[0:1], 0x0
	s_bfe_u32 s2, ttmp6, 0x40010
	s_bfe_u32 s4, ttmp6, 0x40004
	s_add_co_i32 s2, s2, 1
	s_getreg_b32 s5, hwreg(HW_REG_IB_STS2, 6, 4)
	s_mul_i32 s2, ttmp7, s2
	v_mov_b64_e32 v[2:3], 0
	s_add_co_i32 s4, s4, s2
	s_cmp_eq_u32 s5, 0
	v_bfrev_b32_e32 v1, -2
	s_cselect_b32 s4, ttmp7, s4
	s_mov_b32 s9, 0
	s_ashr_i32 s5, s4, 31
	s_mov_b32 s8, exec_lo
	s_wait_kmcnt 0x0
	v_cmpx_gt_i32_e64 s3, v0
	s_cbranch_execz .LBB11_4
; %bb.1:
	s_clause 0x1
	s_load_b128 s[12:15], s[0:1], 0x8
	s_load_b32 s2, s[0:1], 0x18
	s_lshl_b64 s[6:7], s[4:5], 3
	v_mov_b64_e32 v[2:3], 0
	v_bfrev_b32_e32 v1, -2
	v_mov_b32_e32 v5, v0
	s_wait_kmcnt 0x0
	s_add_nc_u64 s[6:7], s[12:13], s[6:7]
	v_mul_lo_u32 v4, v0, s2
	s_load_b64 s[6:7], s[6:7], 0x0
	s_lshl_b64 s[10:11], s[14:15], 3
	s_wait_kmcnt 0x0
	s_add_nc_u64 s[6:7], s[6:7], s[10:11]
	s_lshl_b32 s10, s2, 10
.LBB11_2:                               ; =>This Inner Loop Header: Depth=1
	flat_load_b64 v[6:7], v4, s[6:7] scale_offset
	v_cmp_eq_u32_e32 vcc_lo, 0x7fffffff, v1
	s_wait_xcnt 0x0
	v_dual_add_nc_u32 v8, 1, v5 :: v_dual_add_nc_u32 v4, s10, v4
	s_wait_loadcnt_dscnt 0x0
	v_cmp_lt_f64_e64 s11, v[2:3], |v[6:7]|
	v_and_b32_e32 v7, 0x7fffffff, v7
	s_or_b32 vcc_lo, s11, vcc_lo
	v_dual_cndmask_b32 v2, v2, v6 :: v_dual_add_nc_u32 v5, 0x400, v5
	s_delay_alu instid0(VALU_DEP_2) | instskip(NEXT) | instid1(VALU_DEP_2)
	v_dual_cndmask_b32 v3, v3, v7, vcc_lo :: v_dual_cndmask_b32 v1, v1, v8, vcc_lo
	v_cmp_le_i32_e64 s2, s3, v5
	s_or_b32 s9, s2, s9
	s_delay_alu instid0(SALU_CYCLE_1)
	s_and_not1_b32 exec_lo, exec_lo, s9
	s_cbranch_execnz .LBB11_2
; %bb.3:
	s_or_b32 exec_lo, exec_lo, s9
.LBB11_4:
	s_delay_alu instid0(SALU_CYCLE_1)
	s_or_b32 exec_lo, exec_lo, s8
	v_dual_lshlrev_b32 v6, 3, v0 :: v_dual_lshlrev_b32 v4, 2, v0
	s_cmp_lt_i32 s3, 2
	ds_store_b64 v6, v[2:3]
	ds_store_b32 v4, v1 offset:8192
	s_wait_dscnt 0x0
	s_barrier_signal -1
	s_barrier_wait -1
	s_cbranch_scc1 .LBB11_53
; %bb.5:
	v_or_b32_e32 v7, 0x2000, v4
	s_mov_b32 s3, exec_lo
	v_cmpx_gt_u32_e32 0x200, v0
	s_cbranch_execz .LBB11_11
; %bb.6:
	ds_load_b64 v[4:5], v6 offset:4096
	ds_load_b32 v8, v7 offset:2048
	s_mov_b32 s7, exec_lo
	s_wait_dscnt 0x1
	v_cmp_lt_f64_e64 s6, v[2:3], v[4:5]
	v_cmpx_nlt_f64_e32 v[2:3], v[4:5]
	s_cbranch_execz .LBB11_8
; %bb.7:
	v_cmp_eq_f64_e32 vcc_lo, v[2:3], v[4:5]
	s_wait_dscnt 0x0
	v_cmp_gt_i32_e64 s2, v1, v8
	s_and_not1_b32 s6, s6, exec_lo
	s_and_b32 s2, vcc_lo, s2
	s_delay_alu instid0(SALU_CYCLE_1) | instskip(NEXT) | instid1(SALU_CYCLE_1)
	s_and_b32 s2, s2, exec_lo
	s_or_b32 s6, s6, s2
.LBB11_8:
	s_or_b32 exec_lo, exec_lo, s7
	s_and_saveexec_b32 s2, s6
	s_cbranch_execz .LBB11_10
; %bb.9:
	v_mov_b64_e32 v[2:3], v[4:5]
	s_wait_dscnt 0x0
	v_mov_b32_e32 v1, v8
	ds_store_b64 v6, v[4:5]
	ds_store_b32 v7, v8
.LBB11_10:
	s_or_b32 exec_lo, exec_lo, s2
.LBB11_11:
	s_delay_alu instid0(SALU_CYCLE_1) | instskip(NEXT) | instid1(SALU_CYCLE_1)
	s_or_b32 exec_lo, exec_lo, s3
	s_mov_b32 s3, exec_lo
	s_wait_dscnt 0x0
	s_barrier_signal -1
	s_barrier_wait -1
	v_cmpx_gt_u32_e32 0x100, v0
	s_cbranch_execz .LBB11_17
; %bb.12:
	ds_load_b64 v[4:5], v6 offset:2048
	ds_load_b32 v8, v7 offset:1024
	s_mov_b32 s7, exec_lo
	s_wait_dscnt 0x1
	v_cmp_lt_f64_e64 s6, v[2:3], v[4:5]
	v_cmpx_nlt_f64_e32 v[2:3], v[4:5]
	s_cbranch_execz .LBB11_14
; %bb.13:
	v_cmp_eq_f64_e32 vcc_lo, v[2:3], v[4:5]
	s_wait_dscnt 0x0
	v_cmp_gt_i32_e64 s2, v1, v8
	s_and_not1_b32 s6, s6, exec_lo
	s_and_b32 s2, vcc_lo, s2
	s_delay_alu instid0(SALU_CYCLE_1) | instskip(NEXT) | instid1(SALU_CYCLE_1)
	s_and_b32 s2, s2, exec_lo
	s_or_b32 s6, s6, s2
.LBB11_14:
	s_or_b32 exec_lo, exec_lo, s7
	s_and_saveexec_b32 s2, s6
	s_cbranch_execz .LBB11_16
; %bb.15:
	v_mov_b64_e32 v[2:3], v[4:5]
	s_wait_dscnt 0x0
	v_mov_b32_e32 v1, v8
	ds_store_b64 v6, v[4:5]
	ds_store_b32 v7, v8
.LBB11_16:
	s_or_b32 exec_lo, exec_lo, s2
.LBB11_17:
	s_delay_alu instid0(SALU_CYCLE_1) | instskip(NEXT) | instid1(SALU_CYCLE_1)
	s_or_b32 exec_lo, exec_lo, s3
	s_mov_b32 s3, exec_lo
	s_wait_dscnt 0x0
	s_barrier_signal -1
	s_barrier_wait -1
	;; [unrolled: 38-line block ×4, first 2 shown]
	v_cmpx_gt_u32_e32 32, v0
	s_cbranch_execz .LBB11_52
; %bb.30:
	ds_load_b64 v[4:5], v6 offset:256
	ds_load_b32 v8, v7 offset:128
	s_mov_b32 s7, exec_lo
	s_wait_dscnt 0x1
	v_cmp_lt_f64_e64 s3, v[2:3], v[4:5]
	v_cmpx_nlt_f64_e32 v[2:3], v[4:5]
	s_cbranch_execz .LBB11_32
; %bb.31:
	v_cmp_eq_f64_e32 vcc_lo, v[2:3], v[4:5]
	s_wait_dscnt 0x0
	v_cmp_gt_i32_e64 s2, v1, v8
	s_and_not1_b32 s3, s3, exec_lo
	s_and_b32 s2, vcc_lo, s2
	s_delay_alu instid0(SALU_CYCLE_1) | instskip(NEXT) | instid1(SALU_CYCLE_1)
	s_and_b32 s2, s2, exec_lo
	s_or_b32 s3, s3, s2
.LBB11_32:
	s_or_b32 exec_lo, exec_lo, s7
	s_and_saveexec_b32 s2, s3
	s_cbranch_execz .LBB11_34
; %bb.33:
	v_mov_b64_e32 v[2:3], v[4:5]
	s_wait_dscnt 0x0
	v_mov_b32_e32 v1, v8
	ds_store_b64 v6, v[4:5]
	ds_store_b32 v7, v8
.LBB11_34:
	s_or_b32 exec_lo, exec_lo, s2
	ds_load_b64 v[4:5], v6 offset:128
	s_wait_dscnt 0x1
	ds_load_b32 v8, v7 offset:64
	s_mov_b32 s7, exec_lo
	s_wait_dscnt 0x1
	v_cmp_lt_f64_e64 s3, v[2:3], v[4:5]
	v_cmpx_nlt_f64_e32 v[2:3], v[4:5]
	s_cbranch_execz .LBB11_36
; %bb.35:
	v_cmp_eq_f64_e32 vcc_lo, v[2:3], v[4:5]
	s_wait_dscnt 0x0
	v_cmp_gt_i32_e64 s2, v1, v8
	s_and_not1_b32 s3, s3, exec_lo
	s_and_b32 s2, vcc_lo, s2
	s_delay_alu instid0(SALU_CYCLE_1) | instskip(NEXT) | instid1(SALU_CYCLE_1)
	s_and_b32 s2, s2, exec_lo
	s_or_b32 s3, s3, s2
.LBB11_36:
	s_or_b32 exec_lo, exec_lo, s7
	s_and_saveexec_b32 s2, s3
	s_cbranch_execz .LBB11_38
; %bb.37:
	v_mov_b64_e32 v[2:3], v[4:5]
	s_wait_dscnt 0x0
	v_mov_b32_e32 v1, v8
	ds_store_b64 v6, v[4:5]
	ds_store_b32 v7, v8
.LBB11_38:
	s_or_b32 exec_lo, exec_lo, s2
	ds_load_b64 v[4:5], v6 offset:64
	s_wait_dscnt 0x1
	;; [unrolled: 29-line block ×5, first 2 shown]
	ds_load_b32 v8, v7 offset:4
	s_wait_dscnt 0x1
	v_cmp_eq_f64_e32 vcc_lo, v[2:3], v[4:5]
	v_cmp_lt_f64_e64 s2, v[2:3], v[4:5]
	s_wait_dscnt 0x0
	v_cmp_gt_i32_e64 s3, v1, v8
	s_and_b32 s3, vcc_lo, s3
	s_delay_alu instid0(SALU_CYCLE_1) | instskip(NEXT) | instid1(SALU_CYCLE_1)
	s_or_b32 s2, s2, s3
	s_and_b32 exec_lo, exec_lo, s2
	s_cbranch_execz .LBB11_52
; %bb.51:
	ds_store_b64 v6, v[4:5]
	ds_store_b32 v7, v8
.LBB11_52:
	s_or_b32 exec_lo, exec_lo, s6
.LBB11_53:
	s_delay_alu instid0(SALU_CYCLE_1)
	s_mov_b32 s2, exec_lo
	v_cmpx_eq_u32_e32 0, v0
	s_cbranch_execz .LBB11_55
; %bb.54:
	v_mov_b32_e32 v0, 0
	s_load_b64 s[0:1], s[0:1], 0x28
	s_lshl_b64 s[2:3], s[4:5], 2
	ds_load_b32 v1, v0 offset:8192
	s_wait_kmcnt 0x0
	s_add_nc_u64 s[0:1], s[0:1], s[2:3]
	s_wait_dscnt 0x0
	global_store_b32 v0, v1, s[0:1]
.LBB11_55:
	s_endpgm
	.section	.rodata,"a",@progbits
	.p2align	6, 0x0
	.amdhsa_kernel _ZN9rocsolver6v33100L11getf2_iamaxIdiPKPdEEvT0_T1_lS5_lPS5_
		.amdhsa_group_segment_fixed_size 12288
		.amdhsa_private_segment_fixed_size 0
		.amdhsa_kernarg_size 48
		.amdhsa_user_sgpr_count 2
		.amdhsa_user_sgpr_dispatch_ptr 0
		.amdhsa_user_sgpr_queue_ptr 0
		.amdhsa_user_sgpr_kernarg_segment_ptr 1
		.amdhsa_user_sgpr_dispatch_id 0
		.amdhsa_user_sgpr_kernarg_preload_length 0
		.amdhsa_user_sgpr_kernarg_preload_offset 0
		.amdhsa_user_sgpr_private_segment_size 0
		.amdhsa_wavefront_size32 1
		.amdhsa_uses_dynamic_stack 0
		.amdhsa_enable_private_segment 0
		.amdhsa_system_sgpr_workgroup_id_x 1
		.amdhsa_system_sgpr_workgroup_id_y 1
		.amdhsa_system_sgpr_workgroup_id_z 0
		.amdhsa_system_sgpr_workgroup_info 0
		.amdhsa_system_vgpr_workitem_id 0
		.amdhsa_next_free_vgpr 9
		.amdhsa_next_free_sgpr 16
		.amdhsa_named_barrier_count 0
		.amdhsa_reserve_vcc 1
		.amdhsa_float_round_mode_32 0
		.amdhsa_float_round_mode_16_64 0
		.amdhsa_float_denorm_mode_32 3
		.amdhsa_float_denorm_mode_16_64 3
		.amdhsa_fp16_overflow 0
		.amdhsa_memory_ordered 1
		.amdhsa_forward_progress 1
		.amdhsa_inst_pref_size 14
		.amdhsa_round_robin_scheduling 0
		.amdhsa_exception_fp_ieee_invalid_op 0
		.amdhsa_exception_fp_denorm_src 0
		.amdhsa_exception_fp_ieee_div_zero 0
		.amdhsa_exception_fp_ieee_overflow 0
		.amdhsa_exception_fp_ieee_underflow 0
		.amdhsa_exception_fp_ieee_inexact 0
		.amdhsa_exception_int_div_zero 0
	.end_amdhsa_kernel
	.section	.text._ZN9rocsolver6v33100L11getf2_iamaxIdiPKPdEEvT0_T1_lS5_lPS5_,"axG",@progbits,_ZN9rocsolver6v33100L11getf2_iamaxIdiPKPdEEvT0_T1_lS5_lPS5_,comdat
.Lfunc_end11:
	.size	_ZN9rocsolver6v33100L11getf2_iamaxIdiPKPdEEvT0_T1_lS5_lPS5_, .Lfunc_end11-_ZN9rocsolver6v33100L11getf2_iamaxIdiPKPdEEvT0_T1_lS5_lPS5_
                                        ; -- End function
	.set _ZN9rocsolver6v33100L11getf2_iamaxIdiPKPdEEvT0_T1_lS5_lPS5_.num_vgpr, 9
	.set _ZN9rocsolver6v33100L11getf2_iamaxIdiPKPdEEvT0_T1_lS5_lPS5_.num_agpr, 0
	.set _ZN9rocsolver6v33100L11getf2_iamaxIdiPKPdEEvT0_T1_lS5_lPS5_.numbered_sgpr, 16
	.set _ZN9rocsolver6v33100L11getf2_iamaxIdiPKPdEEvT0_T1_lS5_lPS5_.num_named_barrier, 0
	.set _ZN9rocsolver6v33100L11getf2_iamaxIdiPKPdEEvT0_T1_lS5_lPS5_.private_seg_size, 0
	.set _ZN9rocsolver6v33100L11getf2_iamaxIdiPKPdEEvT0_T1_lS5_lPS5_.uses_vcc, 1
	.set _ZN9rocsolver6v33100L11getf2_iamaxIdiPKPdEEvT0_T1_lS5_lPS5_.uses_flat_scratch, 0
	.set _ZN9rocsolver6v33100L11getf2_iamaxIdiPKPdEEvT0_T1_lS5_lPS5_.has_dyn_sized_stack, 0
	.set _ZN9rocsolver6v33100L11getf2_iamaxIdiPKPdEEvT0_T1_lS5_lPS5_.has_recursion, 0
	.set _ZN9rocsolver6v33100L11getf2_iamaxIdiPKPdEEvT0_T1_lS5_lPS5_.has_indirect_call, 0
	.section	.AMDGPU.csdata,"",@progbits
; Kernel info:
; codeLenInByte = 1744
; TotalNumSgprs: 18
; NumVgprs: 9
; ScratchSize: 0
; MemoryBound: 0
; FloatMode: 240
; IeeeMode: 1
; LDSByteSize: 12288 bytes/workgroup (compile time only)
; SGPRBlocks: 0
; VGPRBlocks: 0
; NumSGPRsForWavesPerEU: 18
; NumVGPRsForWavesPerEU: 9
; NamedBarCnt: 0
; Occupancy: 16
; WaveLimiterHint : 1
; COMPUTE_PGM_RSRC2:SCRATCH_EN: 0
; COMPUTE_PGM_RSRC2:USER_SGPR: 2
; COMPUTE_PGM_RSRC2:TRAP_HANDLER: 0
; COMPUTE_PGM_RSRC2:TGID_X_EN: 1
; COMPUTE_PGM_RSRC2:TGID_Y_EN: 1
; COMPUTE_PGM_RSRC2:TGID_Z_EN: 0
; COMPUTE_PGM_RSRC2:TIDIG_COMP_CNT: 0
	.section	.text._ZN9rocsolver6v33100L23getf2_check_singularityIdiiPKPdEEvT0_S5_T2_lS5_S5_lPS5_llPT_S7_PT1_S5_S7_l,"axG",@progbits,_ZN9rocsolver6v33100L23getf2_check_singularityIdiiPKPdEEvT0_S5_T2_lS5_S5_lPS5_llPT_S7_PT1_S5_S7_l,comdat
	.globl	_ZN9rocsolver6v33100L23getf2_check_singularityIdiiPKPdEEvT0_S5_T2_lS5_S5_lPS5_llPT_S7_PT1_S5_S7_l ; -- Begin function _ZN9rocsolver6v33100L23getf2_check_singularityIdiiPKPdEEvT0_S5_T2_lS5_S5_lPS5_llPT_S7_PT1_S5_S7_l
	.p2align	8
	.type	_ZN9rocsolver6v33100L23getf2_check_singularityIdiiPKPdEEvT0_S5_T2_lS5_S5_lPS5_llPT_S7_PT1_S5_S7_l,@function
_ZN9rocsolver6v33100L23getf2_check_singularityIdiiPKPdEEvT0_S5_T2_lS5_S5_lPS5_llPT_S7_PT1_S5_S7_l: ; @_ZN9rocsolver6v33100L23getf2_check_singularityIdiiPKPdEEvT0_S5_T2_lS5_S5_lPS5_llPT_S7_PT1_S5_S7_l
; %bb.0:
	s_clause 0x1
	s_load_b32 s5, s[0:1], 0x7c
	s_load_b64 s[2:3], s[0:1], 0x0
	s_bfe_u32 s4, ttmp6, 0x4000c
	s_and_b32 s6, ttmp6, 15
	s_add_co_i32 s7, s4, 1
	s_getreg_b32 s4, hwreg(HW_REG_IB_STS2, 6, 4)
	s_mul_i32 s7, ttmp9, s7
	s_delay_alu instid0(SALU_CYCLE_1) | instskip(SKIP_4) | instid1(SALU_CYCLE_1)
	s_add_co_i32 s6, s6, s7
	s_wait_kmcnt 0x0
	s_and_b32 s5, s5, 0xffff
	s_cmp_eq_u32 s4, 0
	s_cselect_b32 s6, ttmp9, s6
	v_mad_u32 v0, s6, s5, v0
	s_delay_alu instid0(VALU_DEP_1)
	v_cmp_gt_i32_e32 vcc_lo, s2, v0
	s_and_saveexec_b32 s2, vcc_lo
	s_cbranch_execz .LBB12_10
; %bb.1:
	s_load_b128 s[12:15], s[0:1], 0x48
	s_bfe_u32 s2, ttmp6, 0x40010
	s_clause 0x1
	s_load_b128 s[8:11], s[0:1], 0x8
	s_load_b64 s[22:23], s[0:1], 0x18
	s_add_co_i32 s2, s2, 1
	s_bfe_u32 s5, ttmp6, 0x40004
	s_mul_i32 s2, ttmp7, s2
	s_delay_alu instid0(SALU_CYCLE_1) | instskip(SKIP_2) | instid1(SALU_CYCLE_1)
	s_add_co_i32 s5, s5, s2
	s_cmp_eq_u32 s4, 0
	s_cselect_b32 s26, ttmp7, s5
	s_ashr_i32 s27, s26, 31
	s_delay_alu instid0(SALU_CYCLE_1)
	s_lshl_b64 s[20:21], s[26:27], 2
	s_wait_kmcnt 0x0
	s_add_nc_u64 s[4:5], s[12:13], s[20:21]
	s_lshl_b64 s[12:13], s[26:27], 3
	s_load_b32 s28, s[4:5], 0x0
	s_wait_xcnt 0x0
	s_add_nc_u64 s[4:5], s[8:9], s[12:13]
	s_lshl_b64 s[6:7], s[10:11], 3
	s_load_b64 s[4:5], s[4:5], 0x0
	s_wait_kmcnt 0x0
	s_add_co_i32 s30, s28, s3
	s_delay_alu instid0(SALU_CYCLE_1) | instskip(SKIP_3) | instid1(SALU_CYCLE_1)
	s_add_co_i32 s2, s30, -1
	s_add_nc_u64 s[24:25], s[4:5], s[6:7]
	s_cmp_eq_u32 s2, s3
	s_cselect_b32 s29, -1, 0
	s_and_b32 vcc_lo, exec_lo, s29
	s_cbranch_vccnz .LBB12_3
; %bb.2:
	v_mul_lo_u32 v1, v0, s23
	s_delay_alu instid0(VALU_DEP_1)
	v_mad_u32 v6, s2, s22, v1
	v_mad_u32 v1, s22, s3, v1
	s_clause 0x1
	flat_load_b64 v[2:3], v6, s[24:25] scale_offset
	flat_load_b64 v[4:5], v1, s[24:25] scale_offset
	s_wait_loadcnt_dscnt 0x101
	flat_store_b64 v1, v[2:3], s[24:25] scale_offset
	s_wait_loadcnt_dscnt 0x1
	flat_store_b64 v6, v[4:5], s[24:25] scale_offset
.LBB12_3:
	v_cmp_eq_u32_e32 vcc_lo, s3, v0
	s_wait_xcnt 0x0
	s_and_b32 exec_lo, exec_lo, vcc_lo
	s_cbranch_execz .LBB12_10
; %bb.4:
	s_clause 0x2
	s_load_b256 s[4:11], s[0:1], 0x28
	s_load_b32 s2, s[0:1], 0x58
	s_load_b128 s[16:19], s[0:1], 0x60
	s_wait_kmcnt 0x0
	s_mul_u64 s[0:1], s[8:9], s[26:27]
	s_lshl_b64 s[6:7], s[6:7], 2
	s_add_co_i32 s8, s30, s2
	s_lshl_b64 s[0:1], s[0:1], 2
	s_cmp_eq_u64 s[16:17], 0
	v_dual_mov_b32 v0, s3 :: v_dual_mov_b32 v1, s8
	s_cselect_b32 s8, -1, 0
	s_add_nc_u64 s[0:1], s[4:5], s[0:1]
	s_or_b32 s4, s8, s29
	s_add_nc_u64 s[0:1], s[0:1], s[6:7]
	s_and_b32 vcc_lo, exec_lo, s4
	global_store_b32 v0, v1, s[0:1] scale_offset
	s_cbranch_vccnz .LBB12_6
; %bb.5:
	s_wait_xcnt 0x0
	s_mul_u64 s[0:1], s[18:19], s[26:27]
	s_ashr_i32 s5, s3, 31
	s_lshl_b64 s[0:1], s[0:1], 2
	s_mov_b32 s4, s3
	v_dual_mov_b32 v0, s28 :: v_dual_mov_b32 v1, 0
	s_add_nc_u64 s[0:1], s[16:17], s[0:1]
	s_lshl_b64 s[4:5], s[4:5], 2
	s_delay_alu instid0(SALU_CYCLE_1)
	s_add_nc_u64 s[0:1], s[0:1], s[4:5]
	s_clause 0x1
	global_load_b32 v2, v0, s[0:1] offset:-4 scale_offset
	global_load_b32 v3, v1, s[0:1]
	s_wait_loadcnt 0x1
	global_store_b32 v1, v2, s[0:1]
	s_wait_loadcnt 0x0
	global_store_b32 v0, v3, s[0:1] offset:-4 scale_offset
.LBB12_6:
	s_wait_xcnt 0x0
	s_add_co_i32 s0, s23, s22
	s_delay_alu instid0(SALU_CYCLE_1) | instskip(NEXT) | instid1(SALU_CYCLE_1)
	s_mul_i32 s0, s0, s3
	v_mov_b32_e32 v0, s0
	s_mov_b32 s0, exec_lo
	flat_load_b64 v[0:1], v0, s[24:25] scale_offset
	s_wait_loadcnt_dscnt 0x0
	v_cmpx_neq_f64_e32 0, v[0:1]
	s_xor_b32 s0, exec_lo, s0
	s_cbranch_execz .LBB12_8
; %bb.7:
	v_div_scale_f64 v[2:3], null, v[0:1], v[0:1], 1.0
	s_add_nc_u64 s[4:5], s[10:11], s[12:13]
	v_rcp_f64_e32 v[4:5], v[2:3]
	v_nop
	s_delay_alu instid0(TRANS32_DEP_1) | instskip(NEXT) | instid1(VALU_DEP_1)
	v_fma_f64 v[6:7], -v[2:3], v[4:5], 1.0
	v_fmac_f64_e32 v[4:5], v[4:5], v[6:7]
	s_delay_alu instid0(VALU_DEP_1) | instskip(NEXT) | instid1(VALU_DEP_1)
	v_fma_f64 v[6:7], -v[2:3], v[4:5], 1.0
	v_fmac_f64_e32 v[4:5], v[4:5], v[6:7]
	v_div_scale_f64 v[6:7], vcc_lo, 1.0, v[0:1], 1.0
	s_delay_alu instid0(VALU_DEP_1) | instskip(NEXT) | instid1(VALU_DEP_1)
	v_mul_f64_e32 v[8:9], v[6:7], v[4:5]
	v_fma_f64 v[2:3], -v[2:3], v[8:9], v[6:7]
	s_delay_alu instid0(VALU_DEP_1) | instskip(NEXT) | instid1(VALU_DEP_1)
	v_div_fmas_f64 v[2:3], v[2:3], v[4:5], v[8:9]
	v_div_fixup_f64 v[0:1], v[2:3], v[0:1], 1.0
	v_mov_b32_e32 v2, 0
	global_store_b64 v2, v[0:1], s[4:5]
.LBB12_8:
	s_wait_xcnt 0x0
	s_and_not1_saveexec_b32 s0, s0
	s_cbranch_execz .LBB12_10
; %bb.9:
	v_mov_b32_e32 v0, 0
	s_add_nc_u64 s[0:1], s[14:15], s[20:21]
	v_mov_b64_e32 v[2:3], 1.0
	s_add_nc_u64 s[4:5], s[10:11], s[12:13]
	s_clause 0x1
	global_load_b32 v1, v0, s[0:1]
	global_store_b64 v0, v[2:3], s[4:5]
	s_wait_loadcnt 0x0
	v_cmp_ne_u32_e32 vcc_lo, 0, v1
	s_cbranch_vccz .LBB12_11
.LBB12_10:
	s_endpgm
.LBB12_11:
	s_add_co_i32 s2, s3, s2
	s_delay_alu instid0(SALU_CYCLE_1) | instskip(NEXT) | instid1(SALU_CYCLE_1)
	s_add_co_i32 s2, s2, 1
	v_mov_b32_e32 v1, s2
	global_store_b32 v0, v1, s[0:1]
	s_endpgm
	.section	.rodata,"a",@progbits
	.p2align	6, 0x0
	.amdhsa_kernel _ZN9rocsolver6v33100L23getf2_check_singularityIdiiPKPdEEvT0_S5_T2_lS5_S5_lPS5_llPT_S7_PT1_S5_S7_l
		.amdhsa_group_segment_fixed_size 0
		.amdhsa_private_segment_fixed_size 0
		.amdhsa_kernarg_size 368
		.amdhsa_user_sgpr_count 2
		.amdhsa_user_sgpr_dispatch_ptr 0
		.amdhsa_user_sgpr_queue_ptr 0
		.amdhsa_user_sgpr_kernarg_segment_ptr 1
		.amdhsa_user_sgpr_dispatch_id 0
		.amdhsa_user_sgpr_kernarg_preload_length 0
		.amdhsa_user_sgpr_kernarg_preload_offset 0
		.amdhsa_user_sgpr_private_segment_size 0
		.amdhsa_wavefront_size32 1
		.amdhsa_uses_dynamic_stack 0
		.amdhsa_enable_private_segment 0
		.amdhsa_system_sgpr_workgroup_id_x 1
		.amdhsa_system_sgpr_workgroup_id_y 1
		.amdhsa_system_sgpr_workgroup_id_z 0
		.amdhsa_system_sgpr_workgroup_info 0
		.amdhsa_system_vgpr_workitem_id 0
		.amdhsa_next_free_vgpr 10
		.amdhsa_next_free_sgpr 31
		.amdhsa_named_barrier_count 0
		.amdhsa_reserve_vcc 1
		.amdhsa_float_round_mode_32 0
		.amdhsa_float_round_mode_16_64 0
		.amdhsa_float_denorm_mode_32 3
		.amdhsa_float_denorm_mode_16_64 3
		.amdhsa_fp16_overflow 0
		.amdhsa_memory_ordered 1
		.amdhsa_forward_progress 1
		.amdhsa_inst_pref_size 7
		.amdhsa_round_robin_scheduling 0
		.amdhsa_exception_fp_ieee_invalid_op 0
		.amdhsa_exception_fp_denorm_src 0
		.amdhsa_exception_fp_ieee_div_zero 0
		.amdhsa_exception_fp_ieee_overflow 0
		.amdhsa_exception_fp_ieee_underflow 0
		.amdhsa_exception_fp_ieee_inexact 0
		.amdhsa_exception_int_div_zero 0
	.end_amdhsa_kernel
	.section	.text._ZN9rocsolver6v33100L23getf2_check_singularityIdiiPKPdEEvT0_S5_T2_lS5_S5_lPS5_llPT_S7_PT1_S5_S7_l,"axG",@progbits,_ZN9rocsolver6v33100L23getf2_check_singularityIdiiPKPdEEvT0_S5_T2_lS5_S5_lPS5_llPT_S7_PT1_S5_S7_l,comdat
.Lfunc_end12:
	.size	_ZN9rocsolver6v33100L23getf2_check_singularityIdiiPKPdEEvT0_S5_T2_lS5_S5_lPS5_llPT_S7_PT1_S5_S7_l, .Lfunc_end12-_ZN9rocsolver6v33100L23getf2_check_singularityIdiiPKPdEEvT0_S5_T2_lS5_S5_lPS5_llPT_S7_PT1_S5_S7_l
                                        ; -- End function
	.set _ZN9rocsolver6v33100L23getf2_check_singularityIdiiPKPdEEvT0_S5_T2_lS5_S5_lPS5_llPT_S7_PT1_S5_S7_l.num_vgpr, 10
	.set _ZN9rocsolver6v33100L23getf2_check_singularityIdiiPKPdEEvT0_S5_T2_lS5_S5_lPS5_llPT_S7_PT1_S5_S7_l.num_agpr, 0
	.set _ZN9rocsolver6v33100L23getf2_check_singularityIdiiPKPdEEvT0_S5_T2_lS5_S5_lPS5_llPT_S7_PT1_S5_S7_l.numbered_sgpr, 31
	.set _ZN9rocsolver6v33100L23getf2_check_singularityIdiiPKPdEEvT0_S5_T2_lS5_S5_lPS5_llPT_S7_PT1_S5_S7_l.num_named_barrier, 0
	.set _ZN9rocsolver6v33100L23getf2_check_singularityIdiiPKPdEEvT0_S5_T2_lS5_S5_lPS5_llPT_S7_PT1_S5_S7_l.private_seg_size, 0
	.set _ZN9rocsolver6v33100L23getf2_check_singularityIdiiPKPdEEvT0_S5_T2_lS5_S5_lPS5_llPT_S7_PT1_S5_S7_l.uses_vcc, 1
	.set _ZN9rocsolver6v33100L23getf2_check_singularityIdiiPKPdEEvT0_S5_T2_lS5_S5_lPS5_llPT_S7_PT1_S5_S7_l.uses_flat_scratch, 1
	.set _ZN9rocsolver6v33100L23getf2_check_singularityIdiiPKPdEEvT0_S5_T2_lS5_S5_lPS5_llPT_S7_PT1_S5_S7_l.has_dyn_sized_stack, 0
	.set _ZN9rocsolver6v33100L23getf2_check_singularityIdiiPKPdEEvT0_S5_T2_lS5_S5_lPS5_llPT_S7_PT1_S5_S7_l.has_recursion, 0
	.set _ZN9rocsolver6v33100L23getf2_check_singularityIdiiPKPdEEvT0_S5_T2_lS5_S5_lPS5_llPT_S7_PT1_S5_S7_l.has_indirect_call, 0
	.section	.AMDGPU.csdata,"",@progbits
; Kernel info:
; codeLenInByte = 824
; TotalNumSgprs: 33
; NumVgprs: 10
; ScratchSize: 0
; MemoryBound: 0
; FloatMode: 240
; IeeeMode: 1
; LDSByteSize: 0 bytes/workgroup (compile time only)
; SGPRBlocks: 0
; VGPRBlocks: 0
; NumSGPRsForWavesPerEU: 33
; NumVGPRsForWavesPerEU: 10
; NamedBarCnt: 0
; Occupancy: 16
; WaveLimiterHint : 1
; COMPUTE_PGM_RSRC2:SCRATCH_EN: 0
; COMPUTE_PGM_RSRC2:USER_SGPR: 2
; COMPUTE_PGM_RSRC2:TRAP_HANDLER: 0
; COMPUTE_PGM_RSRC2:TGID_X_EN: 1
; COMPUTE_PGM_RSRC2:TGID_Y_EN: 1
; COMPUTE_PGM_RSRC2:TGID_Z_EN: 0
; COMPUTE_PGM_RSRC2:TIDIG_COMP_CNT: 0
	.section	.text._ZN9rocsolver6v33100L28getf2_npvt_check_singularityIdiiPKPdEEvT0_T2_lS5_S5_lPT_PT1_S5_,"axG",@progbits,_ZN9rocsolver6v33100L28getf2_npvt_check_singularityIdiiPKPdEEvT0_T2_lS5_S5_lPT_PT1_S5_,comdat
	.globl	_ZN9rocsolver6v33100L28getf2_npvt_check_singularityIdiiPKPdEEvT0_T2_lS5_S5_lPT_PT1_S5_ ; -- Begin function _ZN9rocsolver6v33100L28getf2_npvt_check_singularityIdiiPKPdEEvT0_T2_lS5_S5_lPT_PT1_S5_
	.p2align	8
	.type	_ZN9rocsolver6v33100L28getf2_npvt_check_singularityIdiiPKPdEEvT0_T2_lS5_S5_lPT_PT1_S5_,@function
_ZN9rocsolver6v33100L28getf2_npvt_check_singularityIdiiPKPdEEvT0_T2_lS5_S5_lPT_PT1_S5_: ; @_ZN9rocsolver6v33100L28getf2_npvt_check_singularityIdiiPKPdEEvT0_T2_lS5_S5_lPT_PT1_S5_
; %bb.0:
	s_clause 0x1
	s_load_b128 s[12:15], s[0:1], 0x8
	s_load_b32 s10, s[0:1], 0x0
	s_bfe_u32 s2, ttmp6, 0x40010
	s_bfe_u32 s3, ttmp6, 0x40004
	s_add_co_i32 s2, s2, 1
	s_getreg_b32 s4, hwreg(HW_REG_IB_STS2, 6, 4)
	s_mul_i32 s2, ttmp7, s2
	s_load_b64 s[16:17], s[0:1], 0x18
	s_add_co_i32 s3, s3, s2
	s_cmp_eq_u32 s4, 0
	s_cselect_b32 s2, ttmp7, s3
	s_delay_alu instid0(SALU_CYCLE_1) | instskip(NEXT) | instid1(SALU_CYCLE_1)
	s_ashr_i32 s3, s2, 31
	s_lshl_b64 s[8:9], s[2:3], 3
	s_wait_kmcnt 0x0
	s_add_nc_u64 s[12:13], s[12:13], s[8:9]
	s_load_b64 s[18:19], s[12:13], 0x0
	s_load_b128 s[4:7], s[0:1], 0x28
	s_wait_xcnt 0x0
	s_lshl_b64 s[12:13], s[14:15], 3
	s_add_co_i32 s11, s17, s16
	s_delay_alu instid0(SALU_CYCLE_1) | instskip(NEXT) | instid1(SALU_CYCLE_1)
	s_mul_i32 s11, s11, s10
	v_mov_b32_e32 v0, s11
	s_mov_b32 s11, exec_lo
	s_wait_kmcnt 0x0
	s_add_nc_u64 s[12:13], s[18:19], s[12:13]
	flat_load_b64 v[0:1], v0, s[12:13] scale_offset
	s_wait_loadcnt_dscnt 0x0
	v_cmpx_neq_f64_e32 0, v[0:1]
	s_xor_b32 s11, exec_lo, s11
	s_cbranch_execz .LBB13_2
; %bb.1:
	v_div_scale_f64 v[2:3], null, v[0:1], v[0:1], 1.0
	s_add_nc_u64 s[12:13], s[4:5], s[8:9]
	v_rcp_f64_e32 v[4:5], v[2:3]
	v_nop
	s_delay_alu instid0(TRANS32_DEP_1) | instskip(NEXT) | instid1(VALU_DEP_1)
	v_fma_f64 v[6:7], -v[2:3], v[4:5], 1.0
	v_fmac_f64_e32 v[4:5], v[4:5], v[6:7]
	s_delay_alu instid0(VALU_DEP_1) | instskip(NEXT) | instid1(VALU_DEP_1)
	v_fma_f64 v[6:7], -v[2:3], v[4:5], 1.0
	v_fmac_f64_e32 v[4:5], v[4:5], v[6:7]
	v_div_scale_f64 v[6:7], vcc_lo, 1.0, v[0:1], 1.0
	s_delay_alu instid0(VALU_DEP_1) | instskip(NEXT) | instid1(VALU_DEP_1)
	v_mul_f64_e32 v[8:9], v[6:7], v[4:5]
	v_fma_f64 v[2:3], -v[2:3], v[8:9], v[6:7]
	s_delay_alu instid0(VALU_DEP_1) | instskip(NEXT) | instid1(VALU_DEP_1)
	v_div_fmas_f64 v[2:3], v[2:3], v[4:5], v[8:9]
	v_div_fixup_f64 v[0:1], v[2:3], v[0:1], 1.0
	v_mov_b32_e32 v2, 0
	global_store_b64 v2, v[0:1], s[12:13]
.LBB13_2:
	s_wait_xcnt 0x0
	s_and_not1_saveexec_b32 s11, s11
	s_cbranch_execz .LBB13_4
; %bb.3:
	s_lshl_b64 s[2:3], s[2:3], 2
	v_mov_b64_e32 v[2:3], 1.0
	s_add_nc_u64 s[2:3], s[6:7], s[2:3]
	v_mov_b32_e32 v0, 0
	s_load_b32 s6, s[2:3], 0x0
	s_add_nc_u64 s[4:5], s[4:5], s[8:9]
	global_store_b64 v0, v[2:3], s[4:5]
	s_wait_kmcnt 0x0
	s_cmp_lg_u32 s6, 0
	s_cbranch_scc0 .LBB13_5
.LBB13_4:
	s_endpgm
.LBB13_5:
	s_load_b32 s0, s[0:1], 0x38
	s_wait_kmcnt 0x0
	s_add_co_i32 s0, s10, s0
	s_delay_alu instid0(SALU_CYCLE_1) | instskip(NEXT) | instid1(SALU_CYCLE_1)
	s_add_co_i32 s0, s0, 1
	v_mov_b32_e32 v1, s0
	global_store_b32 v0, v1, s[2:3]
	s_endpgm
	.section	.rodata,"a",@progbits
	.p2align	6, 0x0
	.amdhsa_kernel _ZN9rocsolver6v33100L28getf2_npvt_check_singularityIdiiPKPdEEvT0_T2_lS5_S5_lPT_PT1_S5_
		.amdhsa_group_segment_fixed_size 0
		.amdhsa_private_segment_fixed_size 0
		.amdhsa_kernarg_size 60
		.amdhsa_user_sgpr_count 2
		.amdhsa_user_sgpr_dispatch_ptr 0
		.amdhsa_user_sgpr_queue_ptr 0
		.amdhsa_user_sgpr_kernarg_segment_ptr 1
		.amdhsa_user_sgpr_dispatch_id 0
		.amdhsa_user_sgpr_kernarg_preload_length 0
		.amdhsa_user_sgpr_kernarg_preload_offset 0
		.amdhsa_user_sgpr_private_segment_size 0
		.amdhsa_wavefront_size32 1
		.amdhsa_uses_dynamic_stack 0
		.amdhsa_enable_private_segment 0
		.amdhsa_system_sgpr_workgroup_id_x 1
		.amdhsa_system_sgpr_workgroup_id_y 1
		.amdhsa_system_sgpr_workgroup_id_z 0
		.amdhsa_system_sgpr_workgroup_info 0
		.amdhsa_system_vgpr_workitem_id 0
		.amdhsa_next_free_vgpr 10
		.amdhsa_next_free_sgpr 20
		.amdhsa_named_barrier_count 0
		.amdhsa_reserve_vcc 1
		.amdhsa_float_round_mode_32 0
		.amdhsa_float_round_mode_16_64 0
		.amdhsa_float_denorm_mode_32 3
		.amdhsa_float_denorm_mode_16_64 3
		.amdhsa_fp16_overflow 0
		.amdhsa_memory_ordered 1
		.amdhsa_forward_progress 1
		.amdhsa_inst_pref_size 4
		.amdhsa_round_robin_scheduling 0
		.amdhsa_exception_fp_ieee_invalid_op 0
		.amdhsa_exception_fp_denorm_src 0
		.amdhsa_exception_fp_ieee_div_zero 0
		.amdhsa_exception_fp_ieee_overflow 0
		.amdhsa_exception_fp_ieee_underflow 0
		.amdhsa_exception_fp_ieee_inexact 0
		.amdhsa_exception_int_div_zero 0
	.end_amdhsa_kernel
	.section	.text._ZN9rocsolver6v33100L28getf2_npvt_check_singularityIdiiPKPdEEvT0_T2_lS5_S5_lPT_PT1_S5_,"axG",@progbits,_ZN9rocsolver6v33100L28getf2_npvt_check_singularityIdiiPKPdEEvT0_T2_lS5_S5_lPT_PT1_S5_,comdat
.Lfunc_end13:
	.size	_ZN9rocsolver6v33100L28getf2_npvt_check_singularityIdiiPKPdEEvT0_T2_lS5_S5_lPT_PT1_S5_, .Lfunc_end13-_ZN9rocsolver6v33100L28getf2_npvt_check_singularityIdiiPKPdEEvT0_T2_lS5_S5_lPT_PT1_S5_
                                        ; -- End function
	.set _ZN9rocsolver6v33100L28getf2_npvt_check_singularityIdiiPKPdEEvT0_T2_lS5_S5_lPT_PT1_S5_.num_vgpr, 10
	.set _ZN9rocsolver6v33100L28getf2_npvt_check_singularityIdiiPKPdEEvT0_T2_lS5_S5_lPT_PT1_S5_.num_agpr, 0
	.set _ZN9rocsolver6v33100L28getf2_npvt_check_singularityIdiiPKPdEEvT0_T2_lS5_S5_lPT_PT1_S5_.numbered_sgpr, 20
	.set _ZN9rocsolver6v33100L28getf2_npvt_check_singularityIdiiPKPdEEvT0_T2_lS5_S5_lPT_PT1_S5_.num_named_barrier, 0
	.set _ZN9rocsolver6v33100L28getf2_npvt_check_singularityIdiiPKPdEEvT0_T2_lS5_S5_lPT_PT1_S5_.private_seg_size, 0
	.set _ZN9rocsolver6v33100L28getf2_npvt_check_singularityIdiiPKPdEEvT0_T2_lS5_S5_lPT_PT1_S5_.uses_vcc, 1
	.set _ZN9rocsolver6v33100L28getf2_npvt_check_singularityIdiiPKPdEEvT0_T2_lS5_S5_lPT_PT1_S5_.uses_flat_scratch, 0
	.set _ZN9rocsolver6v33100L28getf2_npvt_check_singularityIdiiPKPdEEvT0_T2_lS5_S5_lPT_PT1_S5_.has_dyn_sized_stack, 0
	.set _ZN9rocsolver6v33100L28getf2_npvt_check_singularityIdiiPKPdEEvT0_T2_lS5_S5_lPT_PT1_S5_.has_recursion, 0
	.set _ZN9rocsolver6v33100L28getf2_npvt_check_singularityIdiiPKPdEEvT0_T2_lS5_S5_lPT_PT1_S5_.has_indirect_call, 0
	.section	.AMDGPU.csdata,"",@progbits
; Kernel info:
; codeLenInByte = 392
; TotalNumSgprs: 22
; NumVgprs: 10
; ScratchSize: 0
; MemoryBound: 0
; FloatMode: 240
; IeeeMode: 1
; LDSByteSize: 0 bytes/workgroup (compile time only)
; SGPRBlocks: 0
; VGPRBlocks: 0
; NumSGPRsForWavesPerEU: 22
; NumVGPRsForWavesPerEU: 10
; NamedBarCnt: 0
; Occupancy: 16
; WaveLimiterHint : 1
; COMPUTE_PGM_RSRC2:SCRATCH_EN: 0
; COMPUTE_PGM_RSRC2:USER_SGPR: 2
; COMPUTE_PGM_RSRC2:TRAP_HANDLER: 0
; COMPUTE_PGM_RSRC2:TGID_X_EN: 1
; COMPUTE_PGM_RSRC2:TGID_Y_EN: 1
; COMPUTE_PGM_RSRC2:TGID_Z_EN: 0
; COMPUTE_PGM_RSRC2:TIDIG_COMP_CNT: 0
	.section	.text._ZN9rocsolver6v33100L19getrf_row_permutateIdiPKPdEEvT0_S5_S5_T1_lS5_S5_lPS5_l,"axG",@progbits,_ZN9rocsolver6v33100L19getrf_row_permutateIdiPKPdEEvT0_S5_S5_T1_lS5_S5_lPS5_l,comdat
	.globl	_ZN9rocsolver6v33100L19getrf_row_permutateIdiPKPdEEvT0_S5_S5_T1_lS5_S5_lPS5_l ; -- Begin function _ZN9rocsolver6v33100L19getrf_row_permutateIdiPKPdEEvT0_S5_S5_T1_lS5_S5_lPS5_l
	.p2align	8
	.type	_ZN9rocsolver6v33100L19getrf_row_permutateIdiPKPdEEvT0_S5_S5_T1_lS5_S5_lPS5_l,@function
_ZN9rocsolver6v33100L19getrf_row_permutateIdiPKPdEEvT0_S5_S5_T1_lS5_S5_lPS5_l: ; @_ZN9rocsolver6v33100L19getrf_row_permutateIdiPKPdEEvT0_S5_S5_T1_lS5_S5_lPS5_l
; %bb.0:
	s_clause 0x1
	s_load_u16 s3, s[0:1], 0x4e
	s_load_b96 s[4:6], s[0:1], 0x0
	s_bfe_u32 s2, ttmp6, 0x40010
	s_and_b32 s7, ttmp7, 0xffff
	s_add_co_i32 s9, s2, 1
	s_bfe_u32 s8, ttmp6, 0x40004
	s_mul_i32 s9, s7, s9
	s_getreg_b32 s2, hwreg(HW_REG_IB_STS2, 6, 4)
	v_bfe_u32 v1, v0, 10, 10
	s_add_co_i32 s8, s8, s9
	s_cmp_eq_u32 s2, 0
	s_cselect_b32 s7, s7, s8
	s_wait_kmcnt 0x0
	v_mad_u32 v2, s7, s3, v1
	s_mov_b32 s3, 0
	s_delay_alu instid0(VALU_DEP_1) | instskip(SKIP_1) | instid1(VALU_DEP_1)
	v_cmp_le_i32_e32 vcc_lo, s5, v2
	v_cndmask_b32_e64 v3, 0, s6, vcc_lo
	v_add_nc_u32_e32 v2, v3, v2
	s_delay_alu instid0(VALU_DEP_1)
	v_cmp_gt_i32_e32 vcc_lo, s4, v2
	s_and_saveexec_b32 s4, vcc_lo
	s_cbranch_execz .LBB14_2
; %bb.1:
	s_add_nc_u64 s[8:9], s[0:1], 64
	s_bfe_u32 s11, ttmp6, 0x40008
	s_load_b32 s10, s[8:9], 0xc
	s_load_b128 s[4:7], s[0:1], 0x30
	s_wait_xcnt 0x0
	s_bfe_u32 s8, ttmp6, 0x40014
	s_lshr_b32 s9, ttmp7, 16
	s_add_co_i32 s8, s8, 1
	v_and_b32_e32 v4, 0x3ff, v0
	s_mul_i32 s8, s9, s8
	s_delay_alu instid0(SALU_CYCLE_1)
	s_add_co_i32 s11, s11, s8
	s_wait_kmcnt 0x0
	s_and_b32 s12, s10, 0xffff
	s_cmp_eq_u32 s2, 0
	v_mul_u32_u24_e32 v1, s12, v1
	s_cselect_b32 s2, s9, s11
	v_lshlrev_b32_e32 v7, 3, v4
	s_mul_u64 s[6:7], s[6:7], s[2:3]
	s_delay_alu instid0(SALU_CYCLE_1)
	s_lshl_b64 s[6:7], s[6:7], 2
	v_lshlrev_b32_e32 v1, 3, v1
	s_add_nc_u64 s[8:9], s[4:5], s[6:7]
	global_load_b32 v0, v4, s[8:9] scale_offset
	s_clause 0x1
	s_load_b64 s[10:11], s[0:1], 0x20
	s_load_b128 s[4:7], s[0:1], 0x10
	v_add3_u32 v7, 0, v7, v1
	s_wait_kmcnt 0x0
	v_mul_lo_u32 v5, v2, s11
	s_load_b64 s[0:1], s[4:5], s2 offset:0x0 scale_offset
	s_wait_xcnt 0x0
	s_lshl_b64 s[2:3], s[6:7], 3
	s_wait_kmcnt 0x0
	s_add_nc_u64 s[0:1], s[0:1], s[2:3]
	s_wait_loadcnt 0x0
	s_delay_alu instid0(VALU_DEP_1)
	v_mad_u32 v6, v0, s10, v5
	global_load_b32 v0, v0, s[8:9] scale_offset
	flat_load_b64 v[2:3], v6, s[0:1] scale_offset
	s_wait_loadcnt 0x1
	s_wait_xcnt 0x1
	v_mad_u32 v0, v0, s10, v5
	s_wait_loadcnt_dscnt 0x0
	ds_store_b64 v7, v[2:3]
	flat_load_b64 v[0:1], v0, s[0:1] scale_offset
	v_mad_u32 v2, s10, v4, v5
	s_wait_loadcnt_dscnt 0x0
	flat_store_b64 v6, v[0:1], s[0:1] scale_offset
	s_wait_storecnt_dscnt 0x0
	s_barrier_signal -1
	s_barrier_wait -1
	s_wait_xcnt 0x0
	ds_load_b64 v[0:1], v7
	s_wait_dscnt 0x0
	flat_store_b64 v2, v[0:1], s[0:1] scale_offset
.LBB14_2:
	s_endpgm
	.section	.rodata,"a",@progbits
	.p2align	6, 0x0
	.amdhsa_kernel _ZN9rocsolver6v33100L19getrf_row_permutateIdiPKPdEEvT0_S5_S5_T1_lS5_S5_lPS5_l
		.amdhsa_group_segment_fixed_size 0
		.amdhsa_private_segment_fixed_size 0
		.amdhsa_kernarg_size 320
		.amdhsa_user_sgpr_count 2
		.amdhsa_user_sgpr_dispatch_ptr 0
		.amdhsa_user_sgpr_queue_ptr 0
		.amdhsa_user_sgpr_kernarg_segment_ptr 1
		.amdhsa_user_sgpr_dispatch_id 0
		.amdhsa_user_sgpr_kernarg_preload_length 0
		.amdhsa_user_sgpr_kernarg_preload_offset 0
		.amdhsa_user_sgpr_private_segment_size 0
		.amdhsa_wavefront_size32 1
		.amdhsa_uses_dynamic_stack 0
		.amdhsa_enable_private_segment 0
		.amdhsa_system_sgpr_workgroup_id_x 1
		.amdhsa_system_sgpr_workgroup_id_y 1
		.amdhsa_system_sgpr_workgroup_id_z 1
		.amdhsa_system_sgpr_workgroup_info 0
		.amdhsa_system_vgpr_workitem_id 1
		.amdhsa_next_free_vgpr 8
		.amdhsa_next_free_sgpr 13
		.amdhsa_named_barrier_count 0
		.amdhsa_reserve_vcc 1
		.amdhsa_float_round_mode_32 0
		.amdhsa_float_round_mode_16_64 0
		.amdhsa_float_denorm_mode_32 3
		.amdhsa_float_denorm_mode_16_64 3
		.amdhsa_fp16_overflow 0
		.amdhsa_memory_ordered 1
		.amdhsa_forward_progress 1
		.amdhsa_inst_pref_size 4
		.amdhsa_round_robin_scheduling 0
		.amdhsa_exception_fp_ieee_invalid_op 0
		.amdhsa_exception_fp_denorm_src 0
		.amdhsa_exception_fp_ieee_div_zero 0
		.amdhsa_exception_fp_ieee_overflow 0
		.amdhsa_exception_fp_ieee_underflow 0
		.amdhsa_exception_fp_ieee_inexact 0
		.amdhsa_exception_int_div_zero 0
	.end_amdhsa_kernel
	.section	.text._ZN9rocsolver6v33100L19getrf_row_permutateIdiPKPdEEvT0_S5_S5_T1_lS5_S5_lPS5_l,"axG",@progbits,_ZN9rocsolver6v33100L19getrf_row_permutateIdiPKPdEEvT0_S5_S5_T1_lS5_S5_lPS5_l,comdat
.Lfunc_end14:
	.size	_ZN9rocsolver6v33100L19getrf_row_permutateIdiPKPdEEvT0_S5_S5_T1_lS5_S5_lPS5_l, .Lfunc_end14-_ZN9rocsolver6v33100L19getrf_row_permutateIdiPKPdEEvT0_S5_S5_T1_lS5_S5_lPS5_l
                                        ; -- End function
	.set _ZN9rocsolver6v33100L19getrf_row_permutateIdiPKPdEEvT0_S5_S5_T1_lS5_S5_lPS5_l.num_vgpr, 8
	.set _ZN9rocsolver6v33100L19getrf_row_permutateIdiPKPdEEvT0_S5_S5_T1_lS5_S5_lPS5_l.num_agpr, 0
	.set _ZN9rocsolver6v33100L19getrf_row_permutateIdiPKPdEEvT0_S5_S5_T1_lS5_S5_lPS5_l.numbered_sgpr, 13
	.set _ZN9rocsolver6v33100L19getrf_row_permutateIdiPKPdEEvT0_S5_S5_T1_lS5_S5_lPS5_l.num_named_barrier, 0
	.set _ZN9rocsolver6v33100L19getrf_row_permutateIdiPKPdEEvT0_S5_S5_T1_lS5_S5_lPS5_l.private_seg_size, 0
	.set _ZN9rocsolver6v33100L19getrf_row_permutateIdiPKPdEEvT0_S5_S5_T1_lS5_S5_lPS5_l.uses_vcc, 1
	.set _ZN9rocsolver6v33100L19getrf_row_permutateIdiPKPdEEvT0_S5_S5_T1_lS5_S5_lPS5_l.uses_flat_scratch, 0
	.set _ZN9rocsolver6v33100L19getrf_row_permutateIdiPKPdEEvT0_S5_S5_T1_lS5_S5_lPS5_l.has_dyn_sized_stack, 0
	.set _ZN9rocsolver6v33100L19getrf_row_permutateIdiPKPdEEvT0_S5_S5_T1_lS5_S5_lPS5_l.has_recursion, 0
	.set _ZN9rocsolver6v33100L19getrf_row_permutateIdiPKPdEEvT0_S5_S5_T1_lS5_S5_lPS5_l.has_indirect_call, 0
	.section	.AMDGPU.csdata,"",@progbits
; Kernel info:
; codeLenInByte = 468
; TotalNumSgprs: 15
; NumVgprs: 8
; ScratchSize: 0
; MemoryBound: 0
; FloatMode: 240
; IeeeMode: 1
; LDSByteSize: 0 bytes/workgroup (compile time only)
; SGPRBlocks: 0
; VGPRBlocks: 0
; NumSGPRsForWavesPerEU: 15
; NumVGPRsForWavesPerEU: 8
; NamedBarCnt: 0
; Occupancy: 16
; WaveLimiterHint : 1
; COMPUTE_PGM_RSRC2:SCRATCH_EN: 0
; COMPUTE_PGM_RSRC2:USER_SGPR: 2
; COMPUTE_PGM_RSRC2:TRAP_HANDLER: 0
; COMPUTE_PGM_RSRC2:TGID_X_EN: 1
; COMPUTE_PGM_RSRC2:TGID_Y_EN: 1
; COMPUTE_PGM_RSRC2:TGID_Z_EN: 1
; COMPUTE_PGM_RSRC2:TIDIG_COMP_CNT: 1
	.section	.text._ZN9rocsolver6v33100L12laswp_kernelIdiPKPdEEvT0_T1_lS5_S5_lS5_S5_PKS5_lS5_l,"axG",@progbits,_ZN9rocsolver6v33100L12laswp_kernelIdiPKPdEEvT0_T1_lS5_S5_lS5_S5_PKS5_lS5_l,comdat
	.globl	_ZN9rocsolver6v33100L12laswp_kernelIdiPKPdEEvT0_T1_lS5_S5_lS5_S5_PKS5_lS5_l ; -- Begin function _ZN9rocsolver6v33100L12laswp_kernelIdiPKPdEEvT0_T1_lS5_S5_lS5_S5_PKS5_lS5_l
	.p2align	8
	.type	_ZN9rocsolver6v33100L12laswp_kernelIdiPKPdEEvT0_T1_lS5_S5_lS5_S5_PKS5_lS5_l,@function
_ZN9rocsolver6v33100L12laswp_kernelIdiPKPdEEvT0_T1_lS5_S5_lS5_S5_PKS5_lS5_l: ; @_ZN9rocsolver6v33100L12laswp_kernelIdiPKPdEEvT0_T1_lS5_S5_lS5_S5_PKS5_lS5_l
; %bb.0:
	s_clause 0x1
	s_load_b32 s2, s[0:1], 0x5c
	s_load_b32 s3, s[0:1], 0x0
	s_bfe_u32 s4, ttmp6, 0x4000c
	s_and_b32 s5, ttmp6, 15
	s_add_co_i32 s6, s4, 1
	s_getreg_b32 s4, hwreg(HW_REG_IB_STS2, 6, 4)
	s_mul_i32 s6, ttmp9, s6
	s_delay_alu instid0(SALU_CYCLE_1) | instskip(SKIP_4) | instid1(SALU_CYCLE_1)
	s_add_co_i32 s5, s5, s6
	s_wait_kmcnt 0x0
	s_and_b32 s2, s2, 0xffff
	s_cmp_eq_u32 s4, 0
	s_cselect_b32 s5, ttmp9, s5
	v_mad_u32 v0, s5, s2, v0
	s_mov_b32 s2, exec_lo
	s_delay_alu instid0(VALU_DEP_1)
	v_cmpx_gt_i32_e64 s3, v0
	s_cbranch_execz .LBB15_10
; %bb.1:
	s_clause 0x1
	s_load_b32 s11, s[0:1], 0x40
	s_load_b64 s[2:3], s[0:1], 0x28
	s_bfe_u32 s5, ttmp6, 0x40010
	s_bfe_u32 s6, ttmp6, 0x40004
	s_add_co_i32 s5, s5, 1
	s_delay_alu instid0(SALU_CYCLE_1) | instskip(NEXT) | instid1(SALU_CYCLE_1)
	s_mul_i32 s5, ttmp7, s5
	s_add_co_i32 s6, s6, s5
	s_cmp_eq_u32 s4, 0
	s_cselect_b32 s4, ttmp7, s6
	s_wait_kmcnt 0x0
	s_cmp_gt_i32 s11, -1
	s_cbranch_scc0 .LBB15_3
; %bb.2:
	s_add_co_i32 s8, s3, 1
	s_mov_b32 s9, 1
	s_mov_b32 s10, s2
	s_cbranch_execz .LBB15_4
	s_branch .LBB15_5
.LBB15_3:
                                        ; implicit-def: $sgpr8
	s_mov_b32 s9, 1
	s_mov_b32 s10, s2
.LBB15_4:
	s_mov_b32 s9, -1
	s_add_co_i32 s8, s2, -1
	s_sub_co_i32 s11, 0, s11
	s_mov_b32 s10, s3
.LBB15_5:
	s_delay_alu instid0(SALU_CYCLE_1)
	s_cmp_eq_u32 s10, s8
	s_cbranch_scc1 .LBB15_10
; %bb.6:
	s_clause 0x3
	s_load_b128 s[12:15], s[0:1], 0x8
	s_load_b64 s[6:7], s[0:1], 0x18
	s_load_b128 s[16:19], s[0:1], 0x30
	s_load_b64 s[20:21], s[0:1], 0x48
	s_ashr_i32 s5, s4, 31
	s_wait_xcnt 0x0
	s_lshl_b64 s[0:1], s[4:5], 3
	s_wait_kmcnt 0x0
	s_add_nc_u64 s[0:1], s[12:13], s[0:1]
	v_mul_lo_u32 v0, v0, s7
	s_load_b64 s[12:13], s[0:1], 0x0
	s_wait_xcnt 0x0
	s_add_co_i32 s1, s10, -1
	s_sub_co_i32 s0, s10, s2
	s_lshl_b64 s[14:15], s[14:15], 3
	s_mul_i32 s0, s11, s0
	s_mul_i32 s7, s9, s6
	s_add_co_i32 s0, s2, s0
	s_mul_u64 s[2:3], s[20:21], s[4:5]
	s_lshl_b64 s[4:5], s[18:19], 2
	s_lshl_b64 s[2:3], s[2:3], 2
	v_mad_u32 v1, s6, s1, v0
	s_add_nc_u64 s[2:3], s[16:17], s[2:3]
	s_mul_i32 s11, s11, s9
	s_add_nc_u64 s[2:3], s[2:3], s[4:5]
	s_wait_kmcnt 0x0
	s_add_nc_u64 s[4:5], s[12:13], s[14:15]
	s_branch .LBB15_8
.LBB15_7:                               ;   in Loop: Header=BB15_8 Depth=1
	s_wait_xcnt 0x0
	v_add_nc_u32_e32 v1, s7, v1
	s_add_co_i32 s10, s10, s9
	s_add_co_i32 s0, s0, s11
	s_cmp_lg_u32 s8, s10
	s_cbranch_scc0 .LBB15_10
.LBB15_8:                               ; =>This Inner Loop Header: Depth=1
	s_ashr_i32 s1, s0, 31
	s_delay_alu instid0(SALU_CYCLE_1) | instskip(NEXT) | instid1(SALU_CYCLE_1)
	s_lshl_b64 s[12:13], s[0:1], 2
	s_add_nc_u64 s[12:13], s[2:3], s[12:13]
	s_delay_alu instid0(SALU_CYCLE_1)
	s_add_nc_u64 s[12:13], s[12:13], -4
	s_load_b32 s1, s[12:13], 0x0
	s_wait_kmcnt 0x0
	s_cmp_eq_u32 s10, s1
	s_cbranch_scc1 .LBB15_7
; %bb.9:                                ;   in Loop: Header=BB15_8 Depth=1
	s_add_co_i32 s1, s1, -1
	s_delay_alu instid0(SALU_CYCLE_1)
	v_mad_u32 v6, s1, s6, v0
	s_clause 0x1
	flat_load_b64 v[2:3], v6, s[4:5] scale_offset
	flat_load_b64 v[4:5], v1, s[4:5] scale_offset
	s_wait_loadcnt_dscnt 0x101
	flat_store_b64 v1, v[2:3], s[4:5] scale_offset
	s_wait_loadcnt_dscnt 0x1
	flat_store_b64 v6, v[4:5], s[4:5] scale_offset
	s_branch .LBB15_7
.LBB15_10:
	s_endpgm
	.section	.rodata,"a",@progbits
	.p2align	6, 0x0
	.amdhsa_kernel _ZN9rocsolver6v33100L12laswp_kernelIdiPKPdEEvT0_T1_lS5_S5_lS5_S5_PKS5_lS5_l
		.amdhsa_group_segment_fixed_size 0
		.amdhsa_private_segment_fixed_size 0
		.amdhsa_kernarg_size 336
		.amdhsa_user_sgpr_count 2
		.amdhsa_user_sgpr_dispatch_ptr 0
		.amdhsa_user_sgpr_queue_ptr 0
		.amdhsa_user_sgpr_kernarg_segment_ptr 1
		.amdhsa_user_sgpr_dispatch_id 0
		.amdhsa_user_sgpr_kernarg_preload_length 0
		.amdhsa_user_sgpr_kernarg_preload_offset 0
		.amdhsa_user_sgpr_private_segment_size 0
		.amdhsa_wavefront_size32 1
		.amdhsa_uses_dynamic_stack 0
		.amdhsa_enable_private_segment 0
		.amdhsa_system_sgpr_workgroup_id_x 1
		.amdhsa_system_sgpr_workgroup_id_y 1
		.amdhsa_system_sgpr_workgroup_id_z 0
		.amdhsa_system_sgpr_workgroup_info 0
		.amdhsa_system_vgpr_workitem_id 0
		.amdhsa_next_free_vgpr 7
		.amdhsa_next_free_sgpr 22
		.amdhsa_named_barrier_count 0
		.amdhsa_reserve_vcc 0
		.amdhsa_float_round_mode_32 0
		.amdhsa_float_round_mode_16_64 0
		.amdhsa_float_denorm_mode_32 3
		.amdhsa_float_denorm_mode_16_64 3
		.amdhsa_fp16_overflow 0
		.amdhsa_memory_ordered 1
		.amdhsa_forward_progress 1
		.amdhsa_inst_pref_size 5
		.amdhsa_round_robin_scheduling 0
		.amdhsa_exception_fp_ieee_invalid_op 0
		.amdhsa_exception_fp_denorm_src 0
		.amdhsa_exception_fp_ieee_div_zero 0
		.amdhsa_exception_fp_ieee_overflow 0
		.amdhsa_exception_fp_ieee_underflow 0
		.amdhsa_exception_fp_ieee_inexact 0
		.amdhsa_exception_int_div_zero 0
	.end_amdhsa_kernel
	.section	.text._ZN9rocsolver6v33100L12laswp_kernelIdiPKPdEEvT0_T1_lS5_S5_lS5_S5_PKS5_lS5_l,"axG",@progbits,_ZN9rocsolver6v33100L12laswp_kernelIdiPKPdEEvT0_T1_lS5_S5_lS5_S5_PKS5_lS5_l,comdat
.Lfunc_end15:
	.size	_ZN9rocsolver6v33100L12laswp_kernelIdiPKPdEEvT0_T1_lS5_S5_lS5_S5_PKS5_lS5_l, .Lfunc_end15-_ZN9rocsolver6v33100L12laswp_kernelIdiPKPdEEvT0_T1_lS5_S5_lS5_S5_PKS5_lS5_l
                                        ; -- End function
	.set _ZN9rocsolver6v33100L12laswp_kernelIdiPKPdEEvT0_T1_lS5_S5_lS5_S5_PKS5_lS5_l.num_vgpr, 7
	.set _ZN9rocsolver6v33100L12laswp_kernelIdiPKPdEEvT0_T1_lS5_S5_lS5_S5_PKS5_lS5_l.num_agpr, 0
	.set _ZN9rocsolver6v33100L12laswp_kernelIdiPKPdEEvT0_T1_lS5_S5_lS5_S5_PKS5_lS5_l.numbered_sgpr, 22
	.set _ZN9rocsolver6v33100L12laswp_kernelIdiPKPdEEvT0_T1_lS5_S5_lS5_S5_PKS5_lS5_l.num_named_barrier, 0
	.set _ZN9rocsolver6v33100L12laswp_kernelIdiPKPdEEvT0_T1_lS5_S5_lS5_S5_PKS5_lS5_l.private_seg_size, 0
	.set _ZN9rocsolver6v33100L12laswp_kernelIdiPKPdEEvT0_T1_lS5_S5_lS5_S5_PKS5_lS5_l.uses_vcc, 0
	.set _ZN9rocsolver6v33100L12laswp_kernelIdiPKPdEEvT0_T1_lS5_S5_lS5_S5_PKS5_lS5_l.uses_flat_scratch, 1
	.set _ZN9rocsolver6v33100L12laswp_kernelIdiPKPdEEvT0_T1_lS5_S5_lS5_S5_PKS5_lS5_l.has_dyn_sized_stack, 0
	.set _ZN9rocsolver6v33100L12laswp_kernelIdiPKPdEEvT0_T1_lS5_S5_lS5_S5_PKS5_lS5_l.has_recursion, 0
	.set _ZN9rocsolver6v33100L12laswp_kernelIdiPKPdEEvT0_T1_lS5_S5_lS5_S5_PKS5_lS5_l.has_indirect_call, 0
	.section	.AMDGPU.csdata,"",@progbits
; Kernel info:
; codeLenInByte = 524
; TotalNumSgprs: 22
; NumVgprs: 7
; ScratchSize: 0
; MemoryBound: 0
; FloatMode: 240
; IeeeMode: 1
; LDSByteSize: 0 bytes/workgroup (compile time only)
; SGPRBlocks: 0
; VGPRBlocks: 0
; NumSGPRsForWavesPerEU: 22
; NumVGPRsForWavesPerEU: 7
; NamedBarCnt: 0
; Occupancy: 16
; WaveLimiterHint : 1
; COMPUTE_PGM_RSRC2:SCRATCH_EN: 0
; COMPUTE_PGM_RSRC2:USER_SGPR: 2
; COMPUTE_PGM_RSRC2:TRAP_HANDLER: 0
; COMPUTE_PGM_RSRC2:TGID_X_EN: 1
; COMPUTE_PGM_RSRC2:TGID_Y_EN: 1
; COMPUTE_PGM_RSRC2:TGID_Z_EN: 0
; COMPUTE_PGM_RSRC2:TIDIG_COMP_CNT: 0
	.section	.text._ZN9rocsolver6v33100L6iota_nI19rocblas_complex_numIfEEEvPT_jS4_,"axG",@progbits,_ZN9rocsolver6v33100L6iota_nI19rocblas_complex_numIfEEEvPT_jS4_,comdat
	.globl	_ZN9rocsolver6v33100L6iota_nI19rocblas_complex_numIfEEEvPT_jS4_ ; -- Begin function _ZN9rocsolver6v33100L6iota_nI19rocblas_complex_numIfEEEvPT_jS4_
	.p2align	8
	.type	_ZN9rocsolver6v33100L6iota_nI19rocblas_complex_numIfEEEvPT_jS4_,@function
_ZN9rocsolver6v33100L6iota_nI19rocblas_complex_numIfEEEvPT_jS4_: ; @_ZN9rocsolver6v33100L6iota_nI19rocblas_complex_numIfEEEvPT_jS4_
; %bb.0:
	s_load_b32 s2, s[0:1], 0x8
	s_wait_kmcnt 0x0
	v_cmp_gt_u32_e32 vcc_lo, s2, v0
	s_and_saveexec_b32 s2, vcc_lo
	s_cbranch_execz .LBB16_2
; %bb.1:
	s_clause 0x1
	s_load_b64 s[2:3], s[0:1], 0xc
	s_load_b64 s[4:5], s[0:1], 0x0
	v_cvt_f32_ubyte0_e32 v2, v0
	v_mov_b32_e32 v3, 0
	s_wait_kmcnt 0x0
	v_mov_b64_e32 v[4:5], s[2:3]
	s_delay_alu instid0(VALU_DEP_1)
	v_pk_add_f32 v[2:3], v[4:5], v[2:3]
	global_store_b64 v0, v[2:3], s[4:5] scale_offset
.LBB16_2:
	s_endpgm
	.section	.rodata,"a",@progbits
	.p2align	6, 0x0
	.amdhsa_kernel _ZN9rocsolver6v33100L6iota_nI19rocblas_complex_numIfEEEvPT_jS4_
		.amdhsa_group_segment_fixed_size 0
		.amdhsa_private_segment_fixed_size 0
		.amdhsa_kernarg_size 20
		.amdhsa_user_sgpr_count 2
		.amdhsa_user_sgpr_dispatch_ptr 0
		.amdhsa_user_sgpr_queue_ptr 0
		.amdhsa_user_sgpr_kernarg_segment_ptr 1
		.amdhsa_user_sgpr_dispatch_id 0
		.amdhsa_user_sgpr_kernarg_preload_length 0
		.amdhsa_user_sgpr_kernarg_preload_offset 0
		.amdhsa_user_sgpr_private_segment_size 0
		.amdhsa_wavefront_size32 1
		.amdhsa_uses_dynamic_stack 0
		.amdhsa_enable_private_segment 0
		.amdhsa_system_sgpr_workgroup_id_x 1
		.amdhsa_system_sgpr_workgroup_id_y 0
		.amdhsa_system_sgpr_workgroup_id_z 0
		.amdhsa_system_sgpr_workgroup_info 0
		.amdhsa_system_vgpr_workitem_id 0
		.amdhsa_next_free_vgpr 6
		.amdhsa_next_free_sgpr 6
		.amdhsa_named_barrier_count 0
		.amdhsa_reserve_vcc 1
		.amdhsa_float_round_mode_32 0
		.amdhsa_float_round_mode_16_64 0
		.amdhsa_float_denorm_mode_32 3
		.amdhsa_float_denorm_mode_16_64 3
		.amdhsa_fp16_overflow 0
		.amdhsa_memory_ordered 1
		.amdhsa_forward_progress 1
		.amdhsa_inst_pref_size 1
		.amdhsa_round_robin_scheduling 0
		.amdhsa_exception_fp_ieee_invalid_op 0
		.amdhsa_exception_fp_denorm_src 0
		.amdhsa_exception_fp_ieee_div_zero 0
		.amdhsa_exception_fp_ieee_overflow 0
		.amdhsa_exception_fp_ieee_underflow 0
		.amdhsa_exception_fp_ieee_inexact 0
		.amdhsa_exception_int_div_zero 0
	.end_amdhsa_kernel
	.section	.text._ZN9rocsolver6v33100L6iota_nI19rocblas_complex_numIfEEEvPT_jS4_,"axG",@progbits,_ZN9rocsolver6v33100L6iota_nI19rocblas_complex_numIfEEEvPT_jS4_,comdat
.Lfunc_end16:
	.size	_ZN9rocsolver6v33100L6iota_nI19rocblas_complex_numIfEEEvPT_jS4_, .Lfunc_end16-_ZN9rocsolver6v33100L6iota_nI19rocblas_complex_numIfEEEvPT_jS4_
                                        ; -- End function
	.set _ZN9rocsolver6v33100L6iota_nI19rocblas_complex_numIfEEEvPT_jS4_.num_vgpr, 6
	.set _ZN9rocsolver6v33100L6iota_nI19rocblas_complex_numIfEEEvPT_jS4_.num_agpr, 0
	.set _ZN9rocsolver6v33100L6iota_nI19rocblas_complex_numIfEEEvPT_jS4_.numbered_sgpr, 6
	.set _ZN9rocsolver6v33100L6iota_nI19rocblas_complex_numIfEEEvPT_jS4_.num_named_barrier, 0
	.set _ZN9rocsolver6v33100L6iota_nI19rocblas_complex_numIfEEEvPT_jS4_.private_seg_size, 0
	.set _ZN9rocsolver6v33100L6iota_nI19rocblas_complex_numIfEEEvPT_jS4_.uses_vcc, 1
	.set _ZN9rocsolver6v33100L6iota_nI19rocblas_complex_numIfEEEvPT_jS4_.uses_flat_scratch, 0
	.set _ZN9rocsolver6v33100L6iota_nI19rocblas_complex_numIfEEEvPT_jS4_.has_dyn_sized_stack, 0
	.set _ZN9rocsolver6v33100L6iota_nI19rocblas_complex_numIfEEEvPT_jS4_.has_recursion, 0
	.set _ZN9rocsolver6v33100L6iota_nI19rocblas_complex_numIfEEEvPT_jS4_.has_indirect_call, 0
	.section	.AMDGPU.csdata,"",@progbits
; Kernel info:
; codeLenInByte = 88
; TotalNumSgprs: 8
; NumVgprs: 6
; ScratchSize: 0
; MemoryBound: 0
; FloatMode: 240
; IeeeMode: 1
; LDSByteSize: 0 bytes/workgroup (compile time only)
; SGPRBlocks: 0
; VGPRBlocks: 0
; NumSGPRsForWavesPerEU: 8
; NumVGPRsForWavesPerEU: 6
; NamedBarCnt: 0
; Occupancy: 16
; WaveLimiterHint : 0
; COMPUTE_PGM_RSRC2:SCRATCH_EN: 0
; COMPUTE_PGM_RSRC2:USER_SGPR: 2
; COMPUTE_PGM_RSRC2:TRAP_HANDLER: 0
; COMPUTE_PGM_RSRC2:TGID_X_EN: 1
; COMPUTE_PGM_RSRC2:TGID_Y_EN: 0
; COMPUTE_PGM_RSRC2:TGID_Z_EN: 0
; COMPUTE_PGM_RSRC2:TIDIG_COMP_CNT: 0
	.section	.text._ZN9rocsolver6v33100L17getf2_permut_initI19rocblas_complex_numIfEiEEvT0_PS4_l,"axG",@progbits,_ZN9rocsolver6v33100L17getf2_permut_initI19rocblas_complex_numIfEiEEvT0_PS4_l,comdat
	.globl	_ZN9rocsolver6v33100L17getf2_permut_initI19rocblas_complex_numIfEiEEvT0_PS4_l ; -- Begin function _ZN9rocsolver6v33100L17getf2_permut_initI19rocblas_complex_numIfEiEEvT0_PS4_l
	.p2align	8
	.type	_ZN9rocsolver6v33100L17getf2_permut_initI19rocblas_complex_numIfEiEEvT0_PS4_l,@function
_ZN9rocsolver6v33100L17getf2_permut_initI19rocblas_complex_numIfEiEEvT0_PS4_l: ; @_ZN9rocsolver6v33100L17getf2_permut_initI19rocblas_complex_numIfEiEEvT0_PS4_l
; %bb.0:
	s_clause 0x1
	s_load_b32 s3, s[0:1], 0x24
	s_load_b32 s4, s[0:1], 0x0
	s_bfe_u32 s2, ttmp6, 0x4000c
	s_and_b32 s5, ttmp6, 15
	s_add_co_i32 s6, s2, 1
	s_getreg_b32 s2, hwreg(HW_REG_IB_STS2, 6, 4)
	s_mul_i32 s6, ttmp9, s6
	s_delay_alu instid0(SALU_CYCLE_1) | instskip(SKIP_4) | instid1(SALU_CYCLE_1)
	s_add_co_i32 s5, s5, s6
	s_wait_kmcnt 0x0
	s_and_b32 s3, s3, 0xffff
	s_cmp_eq_u32 s2, 0
	s_cselect_b32 s5, ttmp9, s5
	v_mad_u32 v0, s5, s3, v0
	s_mov_b32 s3, exec_lo
	s_delay_alu instid0(VALU_DEP_1)
	v_cmpx_gt_i32_e64 s4, v0
	s_cbranch_execz .LBB17_2
; %bb.1:
	s_load_b128 s[4:7], s[0:1], 0x8
	s_wait_xcnt 0x0
	s_bfe_u32 s0, ttmp6, 0x40010
	s_bfe_u32 s1, ttmp6, 0x40004
	s_add_co_i32 s0, s0, 1
	s_delay_alu instid0(SALU_CYCLE_1) | instskip(NEXT) | instid1(SALU_CYCLE_1)
	s_mul_i32 s0, ttmp7, s0
	s_add_co_i32 s1, s1, s0
	s_cmp_eq_u32 s2, 0
	s_cselect_b32 s0, ttmp7, s1
	s_delay_alu instid0(SALU_CYCLE_1) | instskip(SKIP_2) | instid1(SALU_CYCLE_1)
	s_ashr_i32 s1, s0, 31
	s_wait_kmcnt 0x0
	s_mul_u64 s[0:1], s[6:7], s[0:1]
	s_lshl_b64 s[0:1], s[0:1], 2
	s_delay_alu instid0(SALU_CYCLE_1)
	s_add_nc_u64 s[0:1], s[4:5], s[0:1]
	global_store_b32 v0, v0, s[0:1] scale_offset
.LBB17_2:
	s_endpgm
	.section	.rodata,"a",@progbits
	.p2align	6, 0x0
	.amdhsa_kernel _ZN9rocsolver6v33100L17getf2_permut_initI19rocblas_complex_numIfEiEEvT0_PS4_l
		.amdhsa_group_segment_fixed_size 0
		.amdhsa_private_segment_fixed_size 0
		.amdhsa_kernarg_size 280
		.amdhsa_user_sgpr_count 2
		.amdhsa_user_sgpr_dispatch_ptr 0
		.amdhsa_user_sgpr_queue_ptr 0
		.amdhsa_user_sgpr_kernarg_segment_ptr 1
		.amdhsa_user_sgpr_dispatch_id 0
		.amdhsa_user_sgpr_kernarg_preload_length 0
		.amdhsa_user_sgpr_kernarg_preload_offset 0
		.amdhsa_user_sgpr_private_segment_size 0
		.amdhsa_wavefront_size32 1
		.amdhsa_uses_dynamic_stack 0
		.amdhsa_enable_private_segment 0
		.amdhsa_system_sgpr_workgroup_id_x 1
		.amdhsa_system_sgpr_workgroup_id_y 1
		.amdhsa_system_sgpr_workgroup_id_z 0
		.amdhsa_system_sgpr_workgroup_info 0
		.amdhsa_system_vgpr_workitem_id 0
		.amdhsa_next_free_vgpr 1
		.amdhsa_next_free_sgpr 8
		.amdhsa_named_barrier_count 0
		.amdhsa_reserve_vcc 0
		.amdhsa_float_round_mode_32 0
		.amdhsa_float_round_mode_16_64 0
		.amdhsa_float_denorm_mode_32 3
		.amdhsa_float_denorm_mode_16_64 3
		.amdhsa_fp16_overflow 0
		.amdhsa_memory_ordered 1
		.amdhsa_forward_progress 1
		.amdhsa_inst_pref_size 2
		.amdhsa_round_robin_scheduling 0
		.amdhsa_exception_fp_ieee_invalid_op 0
		.amdhsa_exception_fp_denorm_src 0
		.amdhsa_exception_fp_ieee_div_zero 0
		.amdhsa_exception_fp_ieee_overflow 0
		.amdhsa_exception_fp_ieee_underflow 0
		.amdhsa_exception_fp_ieee_inexact 0
		.amdhsa_exception_int_div_zero 0
	.end_amdhsa_kernel
	.section	.text._ZN9rocsolver6v33100L17getf2_permut_initI19rocblas_complex_numIfEiEEvT0_PS4_l,"axG",@progbits,_ZN9rocsolver6v33100L17getf2_permut_initI19rocblas_complex_numIfEiEEvT0_PS4_l,comdat
.Lfunc_end17:
	.size	_ZN9rocsolver6v33100L17getf2_permut_initI19rocblas_complex_numIfEiEEvT0_PS4_l, .Lfunc_end17-_ZN9rocsolver6v33100L17getf2_permut_initI19rocblas_complex_numIfEiEEvT0_PS4_l
                                        ; -- End function
	.set _ZN9rocsolver6v33100L17getf2_permut_initI19rocblas_complex_numIfEiEEvT0_PS4_l.num_vgpr, 1
	.set _ZN9rocsolver6v33100L17getf2_permut_initI19rocblas_complex_numIfEiEEvT0_PS4_l.num_agpr, 0
	.set _ZN9rocsolver6v33100L17getf2_permut_initI19rocblas_complex_numIfEiEEvT0_PS4_l.numbered_sgpr, 8
	.set _ZN9rocsolver6v33100L17getf2_permut_initI19rocblas_complex_numIfEiEEvT0_PS4_l.num_named_barrier, 0
	.set _ZN9rocsolver6v33100L17getf2_permut_initI19rocblas_complex_numIfEiEEvT0_PS4_l.private_seg_size, 0
	.set _ZN9rocsolver6v33100L17getf2_permut_initI19rocblas_complex_numIfEiEEvT0_PS4_l.uses_vcc, 0
	.set _ZN9rocsolver6v33100L17getf2_permut_initI19rocblas_complex_numIfEiEEvT0_PS4_l.uses_flat_scratch, 0
	.set _ZN9rocsolver6v33100L17getf2_permut_initI19rocblas_complex_numIfEiEEvT0_PS4_l.has_dyn_sized_stack, 0
	.set _ZN9rocsolver6v33100L17getf2_permut_initI19rocblas_complex_numIfEiEEvT0_PS4_l.has_recursion, 0
	.set _ZN9rocsolver6v33100L17getf2_permut_initI19rocblas_complex_numIfEiEEvT0_PS4_l.has_indirect_call, 0
	.section	.AMDGPU.csdata,"",@progbits
; Kernel info:
; codeLenInByte = 196
; TotalNumSgprs: 8
; NumVgprs: 1
; ScratchSize: 0
; MemoryBound: 0
; FloatMode: 240
; IeeeMode: 1
; LDSByteSize: 0 bytes/workgroup (compile time only)
; SGPRBlocks: 0
; VGPRBlocks: 0
; NumSGPRsForWavesPerEU: 8
; NumVGPRsForWavesPerEU: 1
; NamedBarCnt: 0
; Occupancy: 16
; WaveLimiterHint : 0
; COMPUTE_PGM_RSRC2:SCRATCH_EN: 0
; COMPUTE_PGM_RSRC2:USER_SGPR: 2
; COMPUTE_PGM_RSRC2:TRAP_HANDLER: 0
; COMPUTE_PGM_RSRC2:TGID_X_EN: 1
; COMPUTE_PGM_RSRC2:TGID_Y_EN: 1
; COMPUTE_PGM_RSRC2:TGID_Z_EN: 0
; COMPUTE_PGM_RSRC2:TIDIG_COMP_CNT: 0
	.section	.text._ZN9rocsolver6v33100L11getf2_iamaxI19rocblas_complex_numIfEiPKPS3_EEvT0_T1_lS7_lPS7_,"axG",@progbits,_ZN9rocsolver6v33100L11getf2_iamaxI19rocblas_complex_numIfEiPKPS3_EEvT0_T1_lS7_lPS7_,comdat
	.globl	_ZN9rocsolver6v33100L11getf2_iamaxI19rocblas_complex_numIfEiPKPS3_EEvT0_T1_lS7_lPS7_ ; -- Begin function _ZN9rocsolver6v33100L11getf2_iamaxI19rocblas_complex_numIfEiPKPS3_EEvT0_T1_lS7_lPS7_
	.p2align	8
	.type	_ZN9rocsolver6v33100L11getf2_iamaxI19rocblas_complex_numIfEiPKPS3_EEvT0_T1_lS7_lPS7_,@function
_ZN9rocsolver6v33100L11getf2_iamaxI19rocblas_complex_numIfEiPKPS3_EEvT0_T1_lS7_lPS7_: ; @_ZN9rocsolver6v33100L11getf2_iamaxI19rocblas_complex_numIfEiPKPS3_EEvT0_T1_lS7_lPS7_
; %bb.0:
	s_load_b32 s8, s[0:1], 0x0
	s_bfe_u32 s2, ttmp6, 0x40010
	s_bfe_u32 s3, ttmp6, 0x40004
	s_add_co_i32 s2, s2, 1
	s_getreg_b32 s4, hwreg(HW_REG_IB_STS2, 6, 4)
	s_mul_i32 s2, ttmp7, s2
	v_bfrev_b32_e32 v1, -2
	s_add_co_i32 s3, s3, s2
	s_cmp_eq_u32 s4, 0
	v_mov_b32_e32 v2, 0
	s_cselect_b32 s4, ttmp7, s3
	s_mov_b32 s10, 0
	s_ashr_i32 s5, s4, 31
	s_mov_b32 s9, exec_lo
	s_wait_kmcnt 0x0
	v_cmpx_gt_i32_e64 s8, v0
	s_cbranch_execz .LBB18_4
; %bb.1:
	s_clause 0x1
	s_load_b128 s[12:15], s[0:1], 0x8
	s_load_b32 s11, s[0:1], 0x18
	s_lshl_b64 s[2:3], s[4:5], 3
	v_bfrev_b32_e32 v1, -2
	v_dual_mov_b32 v2, 0 :: v_dual_mov_b32 v4, v0
	s_wait_kmcnt 0x0
	s_add_nc_u64 s[2:3], s[12:13], s[2:3]
	v_mul_lo_u32 v3, v0, s11
	s_load_b64 s[2:3], s[2:3], 0x0
	s_lshl_b64 s[6:7], s[14:15], 3
	s_lshl_b32 s11, s11, 10
	s_wait_kmcnt 0x0
	s_add_nc_u64 s[6:7], s[2:3], s[6:7]
.LBB18_2:                               ; =>This Inner Loop Header: Depth=1
	flat_load_b64 v[6:7], v3, s[6:7] scale_offset
	s_wait_loadcnt_dscnt 0x0
	v_cmp_gt_f32_e32 vcc_lo, 0, v7
	v_cndmask_b32_e64 v5, v7, -v7, vcc_lo
	v_cmp_gt_f32_e32 vcc_lo, 0, v6
	v_cndmask_b32_e64 v6, v6, -v6, vcc_lo
	v_cmp_eq_u32_e32 vcc_lo, 0x7fffffff, v1
	s_delay_alu instid0(VALU_DEP_2) | instskip(NEXT) | instid1(VALU_DEP_1)
	v_dual_add_f32 v5, v6, v5 :: v_dual_add_nc_u32 v6, 1, v4
	v_cmp_lt_f32_e64 s2, v2, v5
	s_or_b32 vcc_lo, s2, vcc_lo
	v_dual_cndmask_b32 v1, v1, v6 :: v_dual_add_nc_u32 v4, 0x400, v4
	v_dual_cndmask_b32 v2, v2, v5 :: v_dual_add_nc_u32 v3, s11, v3
	s_delay_alu instid0(VALU_DEP_2) | instskip(SKIP_1) | instid1(SALU_CYCLE_1)
	v_cmp_le_i32_e64 s3, s8, v4
	s_or_b32 s10, s3, s10
	s_and_not1_b32 exec_lo, exec_lo, s10
	s_cbranch_execnz .LBB18_2
; %bb.3:
	s_or_b32 exec_lo, exec_lo, s10
.LBB18_4:
	s_delay_alu instid0(SALU_CYCLE_1)
	s_or_b32 exec_lo, exec_lo, s9
	v_lshlrev_b32_e32 v3, 2, v0
	s_cmp_lt_i32 s8, 2
	ds_store_2addr_stride64_b32 v3, v1, v2 offset1:16
	s_wait_dscnt 0x0
	s_barrier_signal -1
	s_barrier_wait -1
	s_cbranch_scc1 .LBB18_53
; %bb.5:
	v_or_b32_e32 v4, 0x1000, v3
	s_mov_b32 s3, exec_lo
	v_cmpx_gt_u32_e32 0x200, v0
	s_cbranch_execz .LBB18_11
; %bb.6:
	ds_load_b32 v5, v4 offset:2048
	ds_load_b32 v6, v3 offset:2048
	s_mov_b32 s7, exec_lo
	s_wait_dscnt 0x1
	v_cmp_lt_f32_e64 s6, v2, v5
	v_cmpx_nlt_f32_e32 v2, v5
	s_cbranch_execz .LBB18_8
; %bb.7:
	v_cmp_eq_f32_e32 vcc_lo, v2, v5
	s_wait_dscnt 0x0
	v_cmp_gt_i32_e64 s2, v1, v6
	s_and_not1_b32 s6, s6, exec_lo
	s_and_b32 s2, vcc_lo, s2
	s_delay_alu instid0(SALU_CYCLE_1) | instskip(NEXT) | instid1(SALU_CYCLE_1)
	s_and_b32 s2, s2, exec_lo
	s_or_b32 s6, s6, s2
.LBB18_8:
	s_or_b32 exec_lo, exec_lo, s7
	s_and_saveexec_b32 s2, s6
	s_cbranch_execz .LBB18_10
; %bb.9:
	s_wait_dscnt 0x0
	v_dual_mov_b32 v2, v5 :: v_dual_mov_b32 v1, v6
	ds_store_b32 v4, v5
	ds_store_b32 v3, v6
.LBB18_10:
	s_or_b32 exec_lo, exec_lo, s2
.LBB18_11:
	s_delay_alu instid0(SALU_CYCLE_1) | instskip(NEXT) | instid1(SALU_CYCLE_1)
	s_or_b32 exec_lo, exec_lo, s3
	s_mov_b32 s3, exec_lo
	s_wait_dscnt 0x0
	s_barrier_signal -1
	s_barrier_wait -1
	v_cmpx_gt_u32_e32 0x100, v0
	s_cbranch_execz .LBB18_17
; %bb.12:
	ds_load_b32 v5, v4 offset:1024
	ds_load_b32 v6, v3 offset:1024
	s_mov_b32 s7, exec_lo
	s_wait_dscnt 0x1
	v_cmp_lt_f32_e64 s6, v2, v5
	v_cmpx_nlt_f32_e32 v2, v5
	s_cbranch_execz .LBB18_14
; %bb.13:
	v_cmp_eq_f32_e32 vcc_lo, v2, v5
	s_wait_dscnt 0x0
	v_cmp_gt_i32_e64 s2, v1, v6
	s_and_not1_b32 s6, s6, exec_lo
	s_and_b32 s2, vcc_lo, s2
	s_delay_alu instid0(SALU_CYCLE_1) | instskip(NEXT) | instid1(SALU_CYCLE_1)
	s_and_b32 s2, s2, exec_lo
	s_or_b32 s6, s6, s2
.LBB18_14:
	s_or_b32 exec_lo, exec_lo, s7
	s_and_saveexec_b32 s2, s6
	s_cbranch_execz .LBB18_16
; %bb.15:
	s_wait_dscnt 0x0
	v_dual_mov_b32 v2, v5 :: v_dual_mov_b32 v1, v6
	ds_store_b32 v4, v5
	ds_store_b32 v3, v6
.LBB18_16:
	s_or_b32 exec_lo, exec_lo, s2
.LBB18_17:
	s_delay_alu instid0(SALU_CYCLE_1) | instskip(NEXT) | instid1(SALU_CYCLE_1)
	s_or_b32 exec_lo, exec_lo, s3
	s_mov_b32 s3, exec_lo
	s_wait_dscnt 0x0
	s_barrier_signal -1
	s_barrier_wait -1
	;; [unrolled: 37-line block ×4, first 2 shown]
	v_cmpx_gt_u32_e32 32, v0
	s_cbranch_execz .LBB18_52
; %bb.30:
	ds_load_b32 v5, v4 offset:128
	ds_load_b32 v6, v3 offset:128
	s_mov_b32 s7, exec_lo
	s_wait_dscnt 0x1
	v_cmp_lt_f32_e64 s3, v2, v5
	v_cmpx_nlt_f32_e32 v2, v5
	s_cbranch_execz .LBB18_32
; %bb.31:
	v_cmp_eq_f32_e32 vcc_lo, v2, v5
	s_wait_dscnt 0x0
	v_cmp_gt_i32_e64 s2, v1, v6
	s_and_not1_b32 s3, s3, exec_lo
	s_and_b32 s2, vcc_lo, s2
	s_delay_alu instid0(SALU_CYCLE_1) | instskip(NEXT) | instid1(SALU_CYCLE_1)
	s_and_b32 s2, s2, exec_lo
	s_or_b32 s3, s3, s2
.LBB18_32:
	s_or_b32 exec_lo, exec_lo, s7
	s_and_saveexec_b32 s2, s3
	s_cbranch_execz .LBB18_34
; %bb.33:
	s_wait_dscnt 0x0
	v_dual_mov_b32 v1, v6 :: v_dual_mov_b32 v2, v5
	ds_store_b32 v4, v5
	ds_store_b32 v3, v6
.LBB18_34:
	s_or_b32 exec_lo, exec_lo, s2
	ds_load_b32 v5, v4 offset:64
	s_wait_dscnt 0x1
	ds_load_b32 v6, v3 offset:64
	s_mov_b32 s7, exec_lo
	s_wait_dscnt 0x1
	v_cmp_lt_f32_e64 s3, v2, v5
	v_cmpx_nlt_f32_e32 v2, v5
	s_cbranch_execz .LBB18_36
; %bb.35:
	v_cmp_eq_f32_e32 vcc_lo, v2, v5
	s_wait_dscnt 0x0
	v_cmp_gt_i32_e64 s2, v1, v6
	s_and_not1_b32 s3, s3, exec_lo
	s_and_b32 s2, vcc_lo, s2
	s_delay_alu instid0(SALU_CYCLE_1) | instskip(NEXT) | instid1(SALU_CYCLE_1)
	s_and_b32 s2, s2, exec_lo
	s_or_b32 s3, s3, s2
.LBB18_36:
	s_or_b32 exec_lo, exec_lo, s7
	s_and_saveexec_b32 s2, s3
	s_cbranch_execz .LBB18_38
; %bb.37:
	s_wait_dscnt 0x0
	v_dual_mov_b32 v1, v6 :: v_dual_mov_b32 v2, v5
	ds_store_b32 v4, v5
	ds_store_b32 v3, v6
.LBB18_38:
	s_or_b32 exec_lo, exec_lo, s2
	ds_load_b32 v5, v4 offset:32
	s_wait_dscnt 0x1
	;; [unrolled: 28-line block ×5, first 2 shown]
	ds_load_b32 v6, v3 offset:4
	s_wait_dscnt 0x1
	v_cmp_eq_f32_e32 vcc_lo, v2, v5
	s_wait_dscnt 0x0
	v_cmp_gt_i32_e64 s2, v1, v6
	v_cmp_lt_f32_e64 s3, v2, v5
	s_and_b32 s2, vcc_lo, s2
	s_delay_alu instid0(SALU_CYCLE_1) | instskip(NEXT) | instid1(SALU_CYCLE_1)
	s_or_b32 s2, s3, s2
	s_and_b32 exec_lo, exec_lo, s2
	s_cbranch_execz .LBB18_52
; %bb.51:
	ds_store_b32 v4, v5
	ds_store_b32 v3, v6
.LBB18_52:
	s_or_b32 exec_lo, exec_lo, s6
.LBB18_53:
	s_delay_alu instid0(SALU_CYCLE_1)
	s_mov_b32 s2, exec_lo
	v_cmpx_eq_u32_e32 0, v0
	s_cbranch_execz .LBB18_55
; %bb.54:
	v_mov_b32_e32 v0, 0
	s_load_b64 s[0:1], s[0:1], 0x28
	s_lshl_b64 s[2:3], s[4:5], 2
	ds_load_b32 v1, v0
	s_wait_kmcnt 0x0
	s_add_nc_u64 s[0:1], s[0:1], s[2:3]
	s_wait_dscnt 0x0
	global_store_b32 v0, v1, s[0:1]
.LBB18_55:
	s_endpgm
	.section	.rodata,"a",@progbits
	.p2align	6, 0x0
	.amdhsa_kernel _ZN9rocsolver6v33100L11getf2_iamaxI19rocblas_complex_numIfEiPKPS3_EEvT0_T1_lS7_lPS7_
		.amdhsa_group_segment_fixed_size 8192
		.amdhsa_private_segment_fixed_size 0
		.amdhsa_kernarg_size 48
		.amdhsa_user_sgpr_count 2
		.amdhsa_user_sgpr_dispatch_ptr 0
		.amdhsa_user_sgpr_queue_ptr 0
		.amdhsa_user_sgpr_kernarg_segment_ptr 1
		.amdhsa_user_sgpr_dispatch_id 0
		.amdhsa_user_sgpr_kernarg_preload_length 0
		.amdhsa_user_sgpr_kernarg_preload_offset 0
		.amdhsa_user_sgpr_private_segment_size 0
		.amdhsa_wavefront_size32 1
		.amdhsa_uses_dynamic_stack 0
		.amdhsa_enable_private_segment 0
		.amdhsa_system_sgpr_workgroup_id_x 1
		.amdhsa_system_sgpr_workgroup_id_y 1
		.amdhsa_system_sgpr_workgroup_id_z 0
		.amdhsa_system_sgpr_workgroup_info 0
		.amdhsa_system_vgpr_workitem_id 0
		.amdhsa_next_free_vgpr 8
		.amdhsa_next_free_sgpr 16
		.amdhsa_named_barrier_count 0
		.amdhsa_reserve_vcc 1
		.amdhsa_float_round_mode_32 0
		.amdhsa_float_round_mode_16_64 0
		.amdhsa_float_denorm_mode_32 3
		.amdhsa_float_denorm_mode_16_64 3
		.amdhsa_fp16_overflow 0
		.amdhsa_memory_ordered 1
		.amdhsa_forward_progress 1
		.amdhsa_inst_pref_size 14
		.amdhsa_round_robin_scheduling 0
		.amdhsa_exception_fp_ieee_invalid_op 0
		.amdhsa_exception_fp_denorm_src 0
		.amdhsa_exception_fp_ieee_div_zero 0
		.amdhsa_exception_fp_ieee_overflow 0
		.amdhsa_exception_fp_ieee_underflow 0
		.amdhsa_exception_fp_ieee_inexact 0
		.amdhsa_exception_int_div_zero 0
	.end_amdhsa_kernel
	.section	.text._ZN9rocsolver6v33100L11getf2_iamaxI19rocblas_complex_numIfEiPKPS3_EEvT0_T1_lS7_lPS7_,"axG",@progbits,_ZN9rocsolver6v33100L11getf2_iamaxI19rocblas_complex_numIfEiPKPS3_EEvT0_T1_lS7_lPS7_,comdat
.Lfunc_end18:
	.size	_ZN9rocsolver6v33100L11getf2_iamaxI19rocblas_complex_numIfEiPKPS3_EEvT0_T1_lS7_lPS7_, .Lfunc_end18-_ZN9rocsolver6v33100L11getf2_iamaxI19rocblas_complex_numIfEiPKPS3_EEvT0_T1_lS7_lPS7_
                                        ; -- End function
	.set _ZN9rocsolver6v33100L11getf2_iamaxI19rocblas_complex_numIfEiPKPS3_EEvT0_T1_lS7_lPS7_.num_vgpr, 8
	.set _ZN9rocsolver6v33100L11getf2_iamaxI19rocblas_complex_numIfEiPKPS3_EEvT0_T1_lS7_lPS7_.num_agpr, 0
	.set _ZN9rocsolver6v33100L11getf2_iamaxI19rocblas_complex_numIfEiPKPS3_EEvT0_T1_lS7_lPS7_.numbered_sgpr, 16
	.set _ZN9rocsolver6v33100L11getf2_iamaxI19rocblas_complex_numIfEiPKPS3_EEvT0_T1_lS7_lPS7_.num_named_barrier, 0
	.set _ZN9rocsolver6v33100L11getf2_iamaxI19rocblas_complex_numIfEiPKPS3_EEvT0_T1_lS7_lPS7_.private_seg_size, 0
	.set _ZN9rocsolver6v33100L11getf2_iamaxI19rocblas_complex_numIfEiPKPS3_EEvT0_T1_lS7_lPS7_.uses_vcc, 1
	.set _ZN9rocsolver6v33100L11getf2_iamaxI19rocblas_complex_numIfEiPKPS3_EEvT0_T1_lS7_lPS7_.uses_flat_scratch, 0
	.set _ZN9rocsolver6v33100L11getf2_iamaxI19rocblas_complex_numIfEiPKPS3_EEvT0_T1_lS7_lPS7_.has_dyn_sized_stack, 0
	.set _ZN9rocsolver6v33100L11getf2_iamaxI19rocblas_complex_numIfEiPKPS3_EEvT0_T1_lS7_lPS7_.has_recursion, 0
	.set _ZN9rocsolver6v33100L11getf2_iamaxI19rocblas_complex_numIfEiPKPS3_EEvT0_T1_lS7_lPS7_.has_indirect_call, 0
	.section	.AMDGPU.csdata,"",@progbits
; Kernel info:
; codeLenInByte = 1736
; TotalNumSgprs: 18
; NumVgprs: 8
; ScratchSize: 0
; MemoryBound: 0
; FloatMode: 240
; IeeeMode: 1
; LDSByteSize: 8192 bytes/workgroup (compile time only)
; SGPRBlocks: 0
; VGPRBlocks: 0
; NumSGPRsForWavesPerEU: 18
; NumVGPRsForWavesPerEU: 8
; NamedBarCnt: 0
; Occupancy: 16
; WaveLimiterHint : 1
; COMPUTE_PGM_RSRC2:SCRATCH_EN: 0
; COMPUTE_PGM_RSRC2:USER_SGPR: 2
; COMPUTE_PGM_RSRC2:TRAP_HANDLER: 0
; COMPUTE_PGM_RSRC2:TGID_X_EN: 1
; COMPUTE_PGM_RSRC2:TGID_Y_EN: 1
; COMPUTE_PGM_RSRC2:TGID_Z_EN: 0
; COMPUTE_PGM_RSRC2:TIDIG_COMP_CNT: 0
	.section	.text._ZN9rocsolver6v33100L23getf2_check_singularityI19rocblas_complex_numIfEiiPKPS3_EEvT0_S7_T2_lS7_S7_lPS7_llPT_S9_PT1_S7_S9_l,"axG",@progbits,_ZN9rocsolver6v33100L23getf2_check_singularityI19rocblas_complex_numIfEiiPKPS3_EEvT0_S7_T2_lS7_S7_lPS7_llPT_S9_PT1_S7_S9_l,comdat
	.globl	_ZN9rocsolver6v33100L23getf2_check_singularityI19rocblas_complex_numIfEiiPKPS3_EEvT0_S7_T2_lS7_S7_lPS7_llPT_S9_PT1_S7_S9_l ; -- Begin function _ZN9rocsolver6v33100L23getf2_check_singularityI19rocblas_complex_numIfEiiPKPS3_EEvT0_S7_T2_lS7_S7_lPS7_llPT_S9_PT1_S7_S9_l
	.p2align	8
	.type	_ZN9rocsolver6v33100L23getf2_check_singularityI19rocblas_complex_numIfEiiPKPS3_EEvT0_S7_T2_lS7_S7_lPS7_llPT_S9_PT1_S7_S9_l,@function
_ZN9rocsolver6v33100L23getf2_check_singularityI19rocblas_complex_numIfEiiPKPS3_EEvT0_S7_T2_lS7_S7_lPS7_llPT_S9_PT1_S7_S9_l: ; @_ZN9rocsolver6v33100L23getf2_check_singularityI19rocblas_complex_numIfEiiPKPS3_EEvT0_S7_T2_lS7_S7_lPS7_llPT_S9_PT1_S7_S9_l
; %bb.0:
	s_clause 0x1
	s_load_b32 s5, s[0:1], 0x7c
	s_load_b64 s[2:3], s[0:1], 0x0
	s_bfe_u32 s4, ttmp6, 0x4000c
	s_and_b32 s6, ttmp6, 15
	s_add_co_i32 s7, s4, 1
	s_getreg_b32 s4, hwreg(HW_REG_IB_STS2, 6, 4)
	s_mul_i32 s7, ttmp9, s7
	s_delay_alu instid0(SALU_CYCLE_1) | instskip(SKIP_4) | instid1(SALU_CYCLE_1)
	s_add_co_i32 s6, s6, s7
	s_wait_kmcnt 0x0
	s_and_b32 s5, s5, 0xffff
	s_cmp_eq_u32 s4, 0
	s_cselect_b32 s6, ttmp9, s6
	v_mad_u32 v0, s6, s5, v0
	s_delay_alu instid0(VALU_DEP_1)
	v_cmp_gt_i32_e32 vcc_lo, s2, v0
	s_and_saveexec_b32 s2, vcc_lo
	s_cbranch_execz .LBB19_14
; %bb.1:
	s_load_b128 s[12:15], s[0:1], 0x48
	s_bfe_u32 s2, ttmp6, 0x40010
	s_clause 0x1
	s_load_b128 s[8:11], s[0:1], 0x8
	s_load_b64 s[22:23], s[0:1], 0x18
	s_add_co_i32 s2, s2, 1
	s_bfe_u32 s5, ttmp6, 0x40004
	s_mul_i32 s2, ttmp7, s2
	s_delay_alu instid0(SALU_CYCLE_1) | instskip(SKIP_2) | instid1(SALU_CYCLE_1)
	s_add_co_i32 s5, s5, s2
	s_cmp_eq_u32 s4, 0
	s_cselect_b32 s26, ttmp7, s5
	s_ashr_i32 s27, s26, 31
	s_delay_alu instid0(SALU_CYCLE_1)
	s_lshl_b64 s[20:21], s[26:27], 2
	s_wait_kmcnt 0x0
	s_add_nc_u64 s[4:5], s[12:13], s[20:21]
	s_lshl_b64 s[12:13], s[26:27], 3
	s_load_b32 s28, s[4:5], 0x0
	s_wait_xcnt 0x0
	s_add_nc_u64 s[4:5], s[8:9], s[12:13]
	s_lshl_b64 s[6:7], s[10:11], 3
	s_load_b64 s[4:5], s[4:5], 0x0
	s_wait_kmcnt 0x0
	s_add_co_i32 s30, s28, s3
	s_delay_alu instid0(SALU_CYCLE_1) | instskip(SKIP_3) | instid1(SALU_CYCLE_1)
	s_add_co_i32 s2, s30, -1
	s_add_nc_u64 s[24:25], s[4:5], s[6:7]
	s_cmp_eq_u32 s2, s3
	s_cselect_b32 s29, -1, 0
	s_and_b32 vcc_lo, exec_lo, s29
	s_cbranch_vccnz .LBB19_3
; %bb.2:
	v_mul_lo_u32 v1, v0, s23
	s_delay_alu instid0(VALU_DEP_1)
	v_mad_u32 v6, s2, s22, v1
	v_mad_u32 v1, s22, s3, v1
	s_clause 0x1
	flat_load_b64 v[2:3], v6, s[24:25] scale_offset
	flat_load_b64 v[4:5], v1, s[24:25] scale_offset
	s_wait_loadcnt_dscnt 0x101
	flat_store_b64 v1, v[2:3], s[24:25] scale_offset
	s_wait_loadcnt_dscnt 0x1
	flat_store_b64 v6, v[4:5], s[24:25] scale_offset
.LBB19_3:
	v_cmp_eq_u32_e32 vcc_lo, s3, v0
	s_wait_xcnt 0x0
	s_and_b32 exec_lo, exec_lo, vcc_lo
	s_cbranch_execz .LBB19_14
; %bb.4:
	s_clause 0x2
	s_load_b256 s[4:11], s[0:1], 0x28
	s_load_b32 s2, s[0:1], 0x58
	s_load_b128 s[16:19], s[0:1], 0x60
	s_wait_kmcnt 0x0
	s_mul_u64 s[0:1], s[8:9], s[26:27]
	s_lshl_b64 s[6:7], s[6:7], 2
	s_add_co_i32 s8, s30, s2
	s_lshl_b64 s[0:1], s[0:1], 2
	s_cmp_eq_u64 s[16:17], 0
	v_dual_mov_b32 v0, s3 :: v_dual_mov_b32 v1, s8
	s_cselect_b32 s8, -1, 0
	s_add_nc_u64 s[0:1], s[4:5], s[0:1]
	s_or_b32 s4, s8, s29
	s_add_nc_u64 s[0:1], s[0:1], s[6:7]
	s_and_b32 vcc_lo, exec_lo, s4
	global_store_b32 v0, v1, s[0:1] scale_offset
	s_cbranch_vccnz .LBB19_6
; %bb.5:
	s_wait_xcnt 0x0
	s_mul_u64 s[0:1], s[18:19], s[26:27]
	s_ashr_i32 s5, s3, 31
	s_lshl_b64 s[0:1], s[0:1], 2
	s_mov_b32 s4, s3
	v_dual_mov_b32 v0, s28 :: v_dual_mov_b32 v1, 0
	s_add_nc_u64 s[0:1], s[16:17], s[0:1]
	s_lshl_b64 s[4:5], s[4:5], 2
	s_delay_alu instid0(SALU_CYCLE_1)
	s_add_nc_u64 s[0:1], s[0:1], s[4:5]
	s_clause 0x1
	global_load_b32 v2, v0, s[0:1] offset:-4 scale_offset
	global_load_b32 v3, v1, s[0:1]
	s_wait_loadcnt 0x1
	global_store_b32 v1, v2, s[0:1]
	s_wait_loadcnt 0x0
	global_store_b32 v0, v3, s[0:1] offset:-4 scale_offset
.LBB19_6:
	s_wait_xcnt 0x0
	s_add_co_i32 s0, s23, s22
	s_delay_alu instid0(SALU_CYCLE_1) | instskip(NEXT) | instid1(SALU_CYCLE_1)
	s_mul_i32 s0, s0, s3
	v_mov_b32_e32 v0, s0
	flat_load_b64 v[0:1], v0, s[24:25] scale_offset
	s_wait_loadcnt_dscnt 0x0
	v_cmp_neq_f32_e32 vcc_lo, 0, v0
	v_cmp_neq_f32_e64 s0, 0, v1
	s_or_b32 s0, vcc_lo, s0
	s_wait_xcnt 0x0
	s_and_saveexec_b32 s1, s0
	s_delay_alu instid0(SALU_CYCLE_1)
	s_xor_b32 s0, exec_lo, s1
	s_cbranch_execz .LBB19_12
; %bb.7:
	v_cmp_ngt_f32_e64 s1, |v0|, |v1|
                                        ; implicit-def: $vgpr2_vgpr3
	s_and_saveexec_b32 s4, s1
	s_delay_alu instid0(SALU_CYCLE_1)
	s_xor_b32 s1, exec_lo, s4
	s_cbranch_execz .LBB19_9
; %bb.8:
	v_div_scale_f32 v2, null, v1, v1, v0
	v_div_scale_f32 v5, vcc_lo, v0, v1, v0
	s_delay_alu instid0(VALU_DEP_2) | instskip(SKIP_1) | instid1(TRANS32_DEP_1)
	v_rcp_f32_e32 v3, v2
	v_nop
	v_fma_f32 v4, -v2, v3, 1.0
	s_delay_alu instid0(VALU_DEP_1) | instskip(NEXT) | instid1(VALU_DEP_1)
	v_fmac_f32_e32 v3, v4, v3
	v_mul_f32_e32 v4, v5, v3
	s_delay_alu instid0(VALU_DEP_1) | instskip(NEXT) | instid1(VALU_DEP_1)
	v_fma_f32 v6, -v2, v4, v5
	v_fmac_f32_e32 v4, v6, v3
	s_delay_alu instid0(VALU_DEP_1) | instskip(NEXT) | instid1(VALU_DEP_1)
	v_fma_f32 v2, -v2, v4, v5
	v_div_fmas_f32 v2, v2, v3, v4
	s_delay_alu instid0(VALU_DEP_1) | instskip(NEXT) | instid1(VALU_DEP_1)
	v_div_fixup_f32 v2, v2, v1, v0
	v_fmac_f32_e32 v1, v0, v2
	s_delay_alu instid0(VALU_DEP_1) | instskip(SKIP_1) | instid1(VALU_DEP_2)
	v_div_scale_f32 v0, null, v1, v1, 1.0
	v_div_scale_f32 v5, vcc_lo, 1.0, v1, 1.0
	v_rcp_f32_e32 v3, v0
	v_nop
	s_delay_alu instid0(TRANS32_DEP_1) | instskip(NEXT) | instid1(VALU_DEP_1)
	v_fma_f32 v4, -v0, v3, 1.0
	v_fmac_f32_e32 v3, v4, v3
	s_delay_alu instid0(VALU_DEP_1) | instskip(NEXT) | instid1(VALU_DEP_1)
	v_mul_f32_e32 v4, v5, v3
	v_fma_f32 v6, -v0, v4, v5
	s_delay_alu instid0(VALU_DEP_1) | instskip(NEXT) | instid1(VALU_DEP_1)
	v_fmac_f32_e32 v4, v6, v3
	v_fma_f32 v0, -v0, v4, v5
	s_delay_alu instid0(VALU_DEP_1) | instskip(NEXT) | instid1(VALU_DEP_1)
	v_div_fmas_f32 v0, v0, v3, v4
	v_div_fixup_f32 v0, v0, v1, 1.0
	s_delay_alu instid0(VALU_DEP_1)
	v_mul_f32_e32 v2, v2, v0
	v_xor_b32_e32 v3, 0x80000000, v0
                                        ; implicit-def: $vgpr0_vgpr1
.LBB19_9:
	s_and_not1_saveexec_b32 s1, s1
	s_cbranch_execz .LBB19_11
; %bb.10:
	v_div_scale_f32 v2, null, v0, v0, v1
	v_div_scale_f32 v5, vcc_lo, v1, v0, v1
	s_delay_alu instid0(VALU_DEP_2) | instskip(SKIP_1) | instid1(TRANS32_DEP_1)
	v_rcp_f32_e32 v3, v2
	v_nop
	v_fma_f32 v4, -v2, v3, 1.0
	s_delay_alu instid0(VALU_DEP_1) | instskip(NEXT) | instid1(VALU_DEP_1)
	v_fmac_f32_e32 v3, v4, v3
	v_mul_f32_e32 v4, v5, v3
	s_delay_alu instid0(VALU_DEP_1) | instskip(NEXT) | instid1(VALU_DEP_1)
	v_fma_f32 v6, -v2, v4, v5
	v_fmac_f32_e32 v4, v6, v3
	s_delay_alu instid0(VALU_DEP_1) | instskip(NEXT) | instid1(VALU_DEP_1)
	v_fma_f32 v2, -v2, v4, v5
	v_div_fmas_f32 v2, v2, v3, v4
	s_delay_alu instid0(VALU_DEP_1) | instskip(NEXT) | instid1(VALU_DEP_1)
	v_div_fixup_f32 v3, v2, v0, v1
	v_fmac_f32_e32 v0, v1, v3
	s_delay_alu instid0(VALU_DEP_1) | instskip(NEXT) | instid1(VALU_DEP_1)
	v_div_scale_f32 v1, null, v0, v0, 1.0
	v_rcp_f32_e32 v2, v1
	v_nop
	s_delay_alu instid0(TRANS32_DEP_1) | instskip(NEXT) | instid1(VALU_DEP_1)
	v_fma_f32 v4, -v1, v2, 1.0
	v_fmac_f32_e32 v2, v4, v2
	v_div_scale_f32 v4, vcc_lo, 1.0, v0, 1.0
	s_delay_alu instid0(VALU_DEP_1) | instskip(NEXT) | instid1(VALU_DEP_1)
	v_mul_f32_e32 v5, v4, v2
	v_fma_f32 v6, -v1, v5, v4
	s_delay_alu instid0(VALU_DEP_1) | instskip(NEXT) | instid1(VALU_DEP_1)
	v_fmac_f32_e32 v5, v6, v2
	v_fma_f32 v1, -v1, v5, v4
	s_delay_alu instid0(VALU_DEP_1) | instskip(NEXT) | instid1(VALU_DEP_1)
	v_div_fmas_f32 v1, v1, v2, v5
	v_div_fixup_f32 v2, v1, v0, 1.0
	s_delay_alu instid0(VALU_DEP_1)
	v_mul_f32_e64 v3, v3, -v2
.LBB19_11:
	s_or_b32 exec_lo, exec_lo, s1
	v_mov_b32_e32 v0, 0
	s_add_nc_u64 s[4:5], s[10:11], s[12:13]
	global_store_b64 v0, v[2:3], s[4:5]
.LBB19_12:
	s_wait_xcnt 0x0
	s_and_not1_saveexec_b32 s0, s0
	s_cbranch_execz .LBB19_14
; %bb.13:
	v_mov_b64_e32 v[2:3], 0x3f800000
	v_mov_b32_e32 v0, 0
	s_add_nc_u64 s[4:5], s[10:11], s[12:13]
	s_add_nc_u64 s[0:1], s[14:15], s[20:21]
	s_clause 0x1
	global_store_b64 v0, v[2:3], s[4:5]
	global_load_b32 v1, v0, s[0:1]
	s_wait_loadcnt 0x0
	v_cmp_ne_u32_e32 vcc_lo, 0, v1
	s_cbranch_vccz .LBB19_15
.LBB19_14:
	s_endpgm
.LBB19_15:
	s_add_co_i32 s2, s3, s2
	s_delay_alu instid0(SALU_CYCLE_1) | instskip(NEXT) | instid1(SALU_CYCLE_1)
	s_add_co_i32 s2, s2, 1
	v_mov_b32_e32 v1, s2
	global_store_b32 v0, v1, s[0:1]
	s_endpgm
	.section	.rodata,"a",@progbits
	.p2align	6, 0x0
	.amdhsa_kernel _ZN9rocsolver6v33100L23getf2_check_singularityI19rocblas_complex_numIfEiiPKPS3_EEvT0_S7_T2_lS7_S7_lPS7_llPT_S9_PT1_S7_S9_l
		.amdhsa_group_segment_fixed_size 0
		.amdhsa_private_segment_fixed_size 0
		.amdhsa_kernarg_size 368
		.amdhsa_user_sgpr_count 2
		.amdhsa_user_sgpr_dispatch_ptr 0
		.amdhsa_user_sgpr_queue_ptr 0
		.amdhsa_user_sgpr_kernarg_segment_ptr 1
		.amdhsa_user_sgpr_dispatch_id 0
		.amdhsa_user_sgpr_kernarg_preload_length 0
		.amdhsa_user_sgpr_kernarg_preload_offset 0
		.amdhsa_user_sgpr_private_segment_size 0
		.amdhsa_wavefront_size32 1
		.amdhsa_uses_dynamic_stack 0
		.amdhsa_enable_private_segment 0
		.amdhsa_system_sgpr_workgroup_id_x 1
		.amdhsa_system_sgpr_workgroup_id_y 1
		.amdhsa_system_sgpr_workgroup_id_z 0
		.amdhsa_system_sgpr_workgroup_info 0
		.amdhsa_system_vgpr_workitem_id 0
		.amdhsa_next_free_vgpr 7
		.amdhsa_next_free_sgpr 31
		.amdhsa_named_barrier_count 0
		.amdhsa_reserve_vcc 1
		.amdhsa_float_round_mode_32 0
		.amdhsa_float_round_mode_16_64 0
		.amdhsa_float_denorm_mode_32 3
		.amdhsa_float_denorm_mode_16_64 3
		.amdhsa_fp16_overflow 0
		.amdhsa_memory_ordered 1
		.amdhsa_forward_progress 1
		.amdhsa_inst_pref_size 10
		.amdhsa_round_robin_scheduling 0
		.amdhsa_exception_fp_ieee_invalid_op 0
		.amdhsa_exception_fp_denorm_src 0
		.amdhsa_exception_fp_ieee_div_zero 0
		.amdhsa_exception_fp_ieee_overflow 0
		.amdhsa_exception_fp_ieee_underflow 0
		.amdhsa_exception_fp_ieee_inexact 0
		.amdhsa_exception_int_div_zero 0
	.end_amdhsa_kernel
	.section	.text._ZN9rocsolver6v33100L23getf2_check_singularityI19rocblas_complex_numIfEiiPKPS3_EEvT0_S7_T2_lS7_S7_lPS7_llPT_S9_PT1_S7_S9_l,"axG",@progbits,_ZN9rocsolver6v33100L23getf2_check_singularityI19rocblas_complex_numIfEiiPKPS3_EEvT0_S7_T2_lS7_S7_lPS7_llPT_S9_PT1_S7_S9_l,comdat
.Lfunc_end19:
	.size	_ZN9rocsolver6v33100L23getf2_check_singularityI19rocblas_complex_numIfEiiPKPS3_EEvT0_S7_T2_lS7_S7_lPS7_llPT_S9_PT1_S7_S9_l, .Lfunc_end19-_ZN9rocsolver6v33100L23getf2_check_singularityI19rocblas_complex_numIfEiiPKPS3_EEvT0_S7_T2_lS7_S7_lPS7_llPT_S9_PT1_S7_S9_l
                                        ; -- End function
	.set _ZN9rocsolver6v33100L23getf2_check_singularityI19rocblas_complex_numIfEiiPKPS3_EEvT0_S7_T2_lS7_S7_lPS7_llPT_S9_PT1_S7_S9_l.num_vgpr, 7
	.set _ZN9rocsolver6v33100L23getf2_check_singularityI19rocblas_complex_numIfEiiPKPS3_EEvT0_S7_T2_lS7_S7_lPS7_llPT_S9_PT1_S7_S9_l.num_agpr, 0
	.set _ZN9rocsolver6v33100L23getf2_check_singularityI19rocblas_complex_numIfEiiPKPS3_EEvT0_S7_T2_lS7_S7_lPS7_llPT_S9_PT1_S7_S9_l.numbered_sgpr, 31
	.set _ZN9rocsolver6v33100L23getf2_check_singularityI19rocblas_complex_numIfEiiPKPS3_EEvT0_S7_T2_lS7_S7_lPS7_llPT_S9_PT1_S7_S9_l.num_named_barrier, 0
	.set _ZN9rocsolver6v33100L23getf2_check_singularityI19rocblas_complex_numIfEiiPKPS3_EEvT0_S7_T2_lS7_S7_lPS7_llPT_S9_PT1_S7_S9_l.private_seg_size, 0
	.set _ZN9rocsolver6v33100L23getf2_check_singularityI19rocblas_complex_numIfEiiPKPS3_EEvT0_S7_T2_lS7_S7_lPS7_llPT_S9_PT1_S7_S9_l.uses_vcc, 1
	.set _ZN9rocsolver6v33100L23getf2_check_singularityI19rocblas_complex_numIfEiiPKPS3_EEvT0_S7_T2_lS7_S7_lPS7_llPT_S9_PT1_S7_S9_l.uses_flat_scratch, 1
	.set _ZN9rocsolver6v33100L23getf2_check_singularityI19rocblas_complex_numIfEiiPKPS3_EEvT0_S7_T2_lS7_S7_lPS7_llPT_S9_PT1_S7_S9_l.has_dyn_sized_stack, 0
	.set _ZN9rocsolver6v33100L23getf2_check_singularityI19rocblas_complex_numIfEiiPKPS3_EEvT0_S7_T2_lS7_S7_lPS7_llPT_S9_PT1_S7_S9_l.has_recursion, 0
	.set _ZN9rocsolver6v33100L23getf2_check_singularityI19rocblas_complex_numIfEiiPKPS3_EEvT0_S7_T2_lS7_S7_lPS7_llPT_S9_PT1_S7_S9_l.has_indirect_call, 0
	.section	.AMDGPU.csdata,"",@progbits
; Kernel info:
; codeLenInByte = 1212
; TotalNumSgprs: 33
; NumVgprs: 7
; ScratchSize: 0
; MemoryBound: 0
; FloatMode: 240
; IeeeMode: 1
; LDSByteSize: 0 bytes/workgroup (compile time only)
; SGPRBlocks: 0
; VGPRBlocks: 0
; NumSGPRsForWavesPerEU: 33
; NumVGPRsForWavesPerEU: 7
; NamedBarCnt: 0
; Occupancy: 16
; WaveLimiterHint : 1
; COMPUTE_PGM_RSRC2:SCRATCH_EN: 0
; COMPUTE_PGM_RSRC2:USER_SGPR: 2
; COMPUTE_PGM_RSRC2:TRAP_HANDLER: 0
; COMPUTE_PGM_RSRC2:TGID_X_EN: 1
; COMPUTE_PGM_RSRC2:TGID_Y_EN: 1
; COMPUTE_PGM_RSRC2:TGID_Z_EN: 0
; COMPUTE_PGM_RSRC2:TIDIG_COMP_CNT: 0
	.section	.text._ZN9rocsolver6v33100L28getf2_npvt_check_singularityI19rocblas_complex_numIfEiiPKPS3_EEvT0_T2_lS7_S7_lPT_PT1_S7_,"axG",@progbits,_ZN9rocsolver6v33100L28getf2_npvt_check_singularityI19rocblas_complex_numIfEiiPKPS3_EEvT0_T2_lS7_S7_lPT_PT1_S7_,comdat
	.globl	_ZN9rocsolver6v33100L28getf2_npvt_check_singularityI19rocblas_complex_numIfEiiPKPS3_EEvT0_T2_lS7_S7_lPT_PT1_S7_ ; -- Begin function _ZN9rocsolver6v33100L28getf2_npvt_check_singularityI19rocblas_complex_numIfEiiPKPS3_EEvT0_T2_lS7_S7_lPT_PT1_S7_
	.p2align	8
	.type	_ZN9rocsolver6v33100L28getf2_npvt_check_singularityI19rocblas_complex_numIfEiiPKPS3_EEvT0_T2_lS7_S7_lPT_PT1_S7_,@function
_ZN9rocsolver6v33100L28getf2_npvt_check_singularityI19rocblas_complex_numIfEiiPKPS3_EEvT0_T2_lS7_S7_lPT_PT1_S7_: ; @_ZN9rocsolver6v33100L28getf2_npvt_check_singularityI19rocblas_complex_numIfEiiPKPS3_EEvT0_T2_lS7_S7_lPT_PT1_S7_
; %bb.0:
	s_clause 0x1
	s_load_b128 s[16:19], s[0:1], 0x8
	s_load_b32 s12, s[0:1], 0x0
	s_bfe_u32 s2, ttmp6, 0x40010
	s_bfe_u32 s3, ttmp6, 0x40004
	s_add_co_i32 s2, s2, 1
	s_getreg_b32 s4, hwreg(HW_REG_IB_STS2, 6, 4)
	s_mul_i32 s2, ttmp7, s2
	s_delay_alu instid0(SALU_CYCLE_1) | instskip(SKIP_4) | instid1(SALU_CYCLE_1)
	s_add_co_i32 s3, s3, s2
	s_cmp_eq_u32 s4, 0
	s_cselect_b32 s8, ttmp7, s3
	s_load_b64 s[2:3], s[0:1], 0x18
	s_ashr_i32 s9, s8, 31
	s_lshl_b64 s[10:11], s[8:9], 3
	s_wait_kmcnt 0x0
	s_add_nc_u64 s[14:15], s[16:17], s[10:11]
	s_load_b64 s[16:17], s[14:15], 0x0
	s_load_b128 s[4:7], s[0:1], 0x28
	s_add_co_i32 s2, s3, s2
	s_delay_alu instid0(SALU_CYCLE_1) | instskip(NEXT) | instid1(SALU_CYCLE_1)
	s_mul_i32 s2, s2, s12
	v_mov_b32_e32 v0, s2
	s_lshl_b64 s[2:3], s[18:19], 3
	s_wait_kmcnt 0x0
	s_add_nc_u64 s[2:3], s[16:17], s[2:3]
	flat_load_b64 v[0:1], v0, s[2:3] scale_offset
	s_wait_loadcnt_dscnt 0x0
	v_cmp_neq_f32_e32 vcc_lo, 0, v0
	v_cmp_neq_f32_e64 s2, 0, v1
	s_or_b32 s2, vcc_lo, s2
	s_delay_alu instid0(SALU_CYCLE_1) | instskip(NEXT) | instid1(SALU_CYCLE_1)
	s_and_saveexec_b32 s3, s2
	s_xor_b32 s2, exec_lo, s3
	s_cbranch_execz .LBB20_6
; %bb.1:
	v_cmp_ngt_f32_e64 s3, |v0|, |v1|
                                        ; implicit-def: $vgpr2_vgpr3
	s_and_saveexec_b32 s13, s3
	s_delay_alu instid0(SALU_CYCLE_1)
	s_xor_b32 s3, exec_lo, s13
	s_cbranch_execz .LBB20_3
; %bb.2:
	v_div_scale_f32 v2, null, v1, v1, v0
	v_div_scale_f32 v5, vcc_lo, v0, v1, v0
	s_delay_alu instid0(VALU_DEP_2) | instskip(SKIP_1) | instid1(TRANS32_DEP_1)
	v_rcp_f32_e32 v3, v2
	v_nop
	v_fma_f32 v4, -v2, v3, 1.0
	s_delay_alu instid0(VALU_DEP_1) | instskip(NEXT) | instid1(VALU_DEP_1)
	v_fmac_f32_e32 v3, v4, v3
	v_mul_f32_e32 v4, v5, v3
	s_delay_alu instid0(VALU_DEP_1) | instskip(NEXT) | instid1(VALU_DEP_1)
	v_fma_f32 v6, -v2, v4, v5
	v_fmac_f32_e32 v4, v6, v3
	s_delay_alu instid0(VALU_DEP_1) | instskip(NEXT) | instid1(VALU_DEP_1)
	v_fma_f32 v2, -v2, v4, v5
	v_div_fmas_f32 v2, v2, v3, v4
	s_delay_alu instid0(VALU_DEP_1) | instskip(NEXT) | instid1(VALU_DEP_1)
	v_div_fixup_f32 v2, v2, v1, v0
	v_fmac_f32_e32 v1, v0, v2
	s_delay_alu instid0(VALU_DEP_1) | instskip(SKIP_1) | instid1(VALU_DEP_2)
	v_div_scale_f32 v0, null, v1, v1, 1.0
	v_div_scale_f32 v5, vcc_lo, 1.0, v1, 1.0
	v_rcp_f32_e32 v3, v0
	v_nop
	s_delay_alu instid0(TRANS32_DEP_1) | instskip(NEXT) | instid1(VALU_DEP_1)
	v_fma_f32 v4, -v0, v3, 1.0
	v_fmac_f32_e32 v3, v4, v3
	s_delay_alu instid0(VALU_DEP_1) | instskip(NEXT) | instid1(VALU_DEP_1)
	v_mul_f32_e32 v4, v5, v3
	v_fma_f32 v6, -v0, v4, v5
	s_delay_alu instid0(VALU_DEP_1) | instskip(NEXT) | instid1(VALU_DEP_1)
	v_fmac_f32_e32 v4, v6, v3
	v_fma_f32 v0, -v0, v4, v5
	s_delay_alu instid0(VALU_DEP_1) | instskip(NEXT) | instid1(VALU_DEP_1)
	v_div_fmas_f32 v0, v0, v3, v4
	v_div_fixup_f32 v0, v0, v1, 1.0
	s_delay_alu instid0(VALU_DEP_1)
	v_mul_f32_e32 v2, v2, v0
	v_xor_b32_e32 v3, 0x80000000, v0
                                        ; implicit-def: $vgpr0_vgpr1
.LBB20_3:
	s_and_not1_saveexec_b32 s3, s3
	s_cbranch_execz .LBB20_5
; %bb.4:
	v_div_scale_f32 v2, null, v0, v0, v1
	v_div_scale_f32 v5, vcc_lo, v1, v0, v1
	s_delay_alu instid0(VALU_DEP_2) | instskip(SKIP_1) | instid1(TRANS32_DEP_1)
	v_rcp_f32_e32 v3, v2
	v_nop
	v_fma_f32 v4, -v2, v3, 1.0
	s_delay_alu instid0(VALU_DEP_1) | instskip(NEXT) | instid1(VALU_DEP_1)
	v_fmac_f32_e32 v3, v4, v3
	v_mul_f32_e32 v4, v5, v3
	s_delay_alu instid0(VALU_DEP_1) | instskip(NEXT) | instid1(VALU_DEP_1)
	v_fma_f32 v6, -v2, v4, v5
	v_fmac_f32_e32 v4, v6, v3
	s_delay_alu instid0(VALU_DEP_1) | instskip(NEXT) | instid1(VALU_DEP_1)
	v_fma_f32 v2, -v2, v4, v5
	v_div_fmas_f32 v2, v2, v3, v4
	s_delay_alu instid0(VALU_DEP_1) | instskip(NEXT) | instid1(VALU_DEP_1)
	v_div_fixup_f32 v3, v2, v0, v1
	v_fmac_f32_e32 v0, v1, v3
	s_delay_alu instid0(VALU_DEP_1) | instskip(NEXT) | instid1(VALU_DEP_1)
	v_div_scale_f32 v1, null, v0, v0, 1.0
	v_rcp_f32_e32 v2, v1
	v_nop
	s_delay_alu instid0(TRANS32_DEP_1) | instskip(NEXT) | instid1(VALU_DEP_1)
	v_fma_f32 v4, -v1, v2, 1.0
	v_fmac_f32_e32 v2, v4, v2
	v_div_scale_f32 v4, vcc_lo, 1.0, v0, 1.0
	s_delay_alu instid0(VALU_DEP_1) | instskip(NEXT) | instid1(VALU_DEP_1)
	v_mul_f32_e32 v5, v4, v2
	v_fma_f32 v6, -v1, v5, v4
	s_delay_alu instid0(VALU_DEP_1) | instskip(NEXT) | instid1(VALU_DEP_1)
	v_fmac_f32_e32 v5, v6, v2
	v_fma_f32 v1, -v1, v5, v4
	s_delay_alu instid0(VALU_DEP_1) | instskip(NEXT) | instid1(VALU_DEP_1)
	v_div_fmas_f32 v1, v1, v2, v5
	v_div_fixup_f32 v2, v1, v0, 1.0
	s_delay_alu instid0(VALU_DEP_1)
	v_mul_f32_e64 v3, v3, -v2
.LBB20_5:
	s_or_b32 exec_lo, exec_lo, s3
	v_mov_b32_e32 v0, 0
	s_add_nc_u64 s[14:15], s[4:5], s[10:11]
	global_store_b64 v0, v[2:3], s[14:15]
.LBB20_6:
	s_wait_xcnt 0x0
	s_and_not1_saveexec_b32 s2, s2
	s_cbranch_execz .LBB20_8
; %bb.7:
	v_mov_b64_e32 v[2:3], 0x3f800000
	v_mov_b32_e32 v0, 0
	s_lshl_b64 s[2:3], s[8:9], 2
	s_add_nc_u64 s[4:5], s[4:5], s[10:11]
	s_add_nc_u64 s[2:3], s[6:7], s[2:3]
	s_clause 0x1
	global_store_b64 v0, v[2:3], s[4:5]
	global_load_b32 v1, v0, s[2:3]
	s_wait_loadcnt 0x0
	v_cmp_ne_u32_e32 vcc_lo, 0, v1
	s_cbranch_vccz .LBB20_9
.LBB20_8:
	s_endpgm
.LBB20_9:
	s_load_b32 s0, s[0:1], 0x38
	s_wait_kmcnt 0x0
	s_add_co_i32 s0, s12, s0
	s_delay_alu instid0(SALU_CYCLE_1) | instskip(NEXT) | instid1(SALU_CYCLE_1)
	s_add_co_i32 s0, s0, 1
	v_mov_b32_e32 v1, s0
	global_store_b32 v0, v1, s[2:3]
	s_endpgm
	.section	.rodata,"a",@progbits
	.p2align	6, 0x0
	.amdhsa_kernel _ZN9rocsolver6v33100L28getf2_npvt_check_singularityI19rocblas_complex_numIfEiiPKPS3_EEvT0_T2_lS7_S7_lPT_PT1_S7_
		.amdhsa_group_segment_fixed_size 0
		.amdhsa_private_segment_fixed_size 0
		.amdhsa_kernarg_size 60
		.amdhsa_user_sgpr_count 2
		.amdhsa_user_sgpr_dispatch_ptr 0
		.amdhsa_user_sgpr_queue_ptr 0
		.amdhsa_user_sgpr_kernarg_segment_ptr 1
		.amdhsa_user_sgpr_dispatch_id 0
		.amdhsa_user_sgpr_kernarg_preload_length 0
		.amdhsa_user_sgpr_kernarg_preload_offset 0
		.amdhsa_user_sgpr_private_segment_size 0
		.amdhsa_wavefront_size32 1
		.amdhsa_uses_dynamic_stack 0
		.amdhsa_enable_private_segment 0
		.amdhsa_system_sgpr_workgroup_id_x 1
		.amdhsa_system_sgpr_workgroup_id_y 1
		.amdhsa_system_sgpr_workgroup_id_z 0
		.amdhsa_system_sgpr_workgroup_info 0
		.amdhsa_system_vgpr_workitem_id 0
		.amdhsa_next_free_vgpr 7
		.amdhsa_next_free_sgpr 20
		.amdhsa_named_barrier_count 0
		.amdhsa_reserve_vcc 1
		.amdhsa_float_round_mode_32 0
		.amdhsa_float_round_mode_16_64 0
		.amdhsa_float_denorm_mode_32 3
		.amdhsa_float_denorm_mode_16_64 3
		.amdhsa_fp16_overflow 0
		.amdhsa_memory_ordered 1
		.amdhsa_forward_progress 1
		.amdhsa_inst_pref_size 7
		.amdhsa_round_robin_scheduling 0
		.amdhsa_exception_fp_ieee_invalid_op 0
		.amdhsa_exception_fp_denorm_src 0
		.amdhsa_exception_fp_ieee_div_zero 0
		.amdhsa_exception_fp_ieee_overflow 0
		.amdhsa_exception_fp_ieee_underflow 0
		.amdhsa_exception_fp_ieee_inexact 0
		.amdhsa_exception_int_div_zero 0
	.end_amdhsa_kernel
	.section	.text._ZN9rocsolver6v33100L28getf2_npvt_check_singularityI19rocblas_complex_numIfEiiPKPS3_EEvT0_T2_lS7_S7_lPT_PT1_S7_,"axG",@progbits,_ZN9rocsolver6v33100L28getf2_npvt_check_singularityI19rocblas_complex_numIfEiiPKPS3_EEvT0_T2_lS7_S7_lPT_PT1_S7_,comdat
.Lfunc_end20:
	.size	_ZN9rocsolver6v33100L28getf2_npvt_check_singularityI19rocblas_complex_numIfEiiPKPS3_EEvT0_T2_lS7_S7_lPT_PT1_S7_, .Lfunc_end20-_ZN9rocsolver6v33100L28getf2_npvt_check_singularityI19rocblas_complex_numIfEiiPKPS3_EEvT0_T2_lS7_S7_lPT_PT1_S7_
                                        ; -- End function
	.set _ZN9rocsolver6v33100L28getf2_npvt_check_singularityI19rocblas_complex_numIfEiiPKPS3_EEvT0_T2_lS7_S7_lPT_PT1_S7_.num_vgpr, 7
	.set _ZN9rocsolver6v33100L28getf2_npvt_check_singularityI19rocblas_complex_numIfEiiPKPS3_EEvT0_T2_lS7_S7_lPT_PT1_S7_.num_agpr, 0
	.set _ZN9rocsolver6v33100L28getf2_npvt_check_singularityI19rocblas_complex_numIfEiiPKPS3_EEvT0_T2_lS7_S7_lPT_PT1_S7_.numbered_sgpr, 20
	.set _ZN9rocsolver6v33100L28getf2_npvt_check_singularityI19rocblas_complex_numIfEiiPKPS3_EEvT0_T2_lS7_S7_lPT_PT1_S7_.num_named_barrier, 0
	.set _ZN9rocsolver6v33100L28getf2_npvt_check_singularityI19rocblas_complex_numIfEiiPKPS3_EEvT0_T2_lS7_S7_lPT_PT1_S7_.private_seg_size, 0
	.set _ZN9rocsolver6v33100L28getf2_npvt_check_singularityI19rocblas_complex_numIfEiiPKPS3_EEvT0_T2_lS7_S7_lPT_PT1_S7_.uses_vcc, 1
	.set _ZN9rocsolver6v33100L28getf2_npvt_check_singularityI19rocblas_complex_numIfEiiPKPS3_EEvT0_T2_lS7_S7_lPT_PT1_S7_.uses_flat_scratch, 0
	.set _ZN9rocsolver6v33100L28getf2_npvt_check_singularityI19rocblas_complex_numIfEiiPKPS3_EEvT0_T2_lS7_S7_lPT_PT1_S7_.has_dyn_sized_stack, 0
	.set _ZN9rocsolver6v33100L28getf2_npvt_check_singularityI19rocblas_complex_numIfEiiPKPS3_EEvT0_T2_lS7_S7_lPT_PT1_S7_.has_recursion, 0
	.set _ZN9rocsolver6v33100L28getf2_npvt_check_singularityI19rocblas_complex_numIfEiiPKPS3_EEvT0_T2_lS7_S7_lPT_PT1_S7_.has_indirect_call, 0
	.section	.AMDGPU.csdata,"",@progbits
; Kernel info:
; codeLenInByte = 780
; TotalNumSgprs: 22
; NumVgprs: 7
; ScratchSize: 0
; MemoryBound: 0
; FloatMode: 240
; IeeeMode: 1
; LDSByteSize: 0 bytes/workgroup (compile time only)
; SGPRBlocks: 0
; VGPRBlocks: 0
; NumSGPRsForWavesPerEU: 22
; NumVGPRsForWavesPerEU: 7
; NamedBarCnt: 0
; Occupancy: 16
; WaveLimiterHint : 1
; COMPUTE_PGM_RSRC2:SCRATCH_EN: 0
; COMPUTE_PGM_RSRC2:USER_SGPR: 2
; COMPUTE_PGM_RSRC2:TRAP_HANDLER: 0
; COMPUTE_PGM_RSRC2:TGID_X_EN: 1
; COMPUTE_PGM_RSRC2:TGID_Y_EN: 1
; COMPUTE_PGM_RSRC2:TGID_Z_EN: 0
; COMPUTE_PGM_RSRC2:TIDIG_COMP_CNT: 0
	.section	.text._ZN9rocsolver6v33100L19getrf_row_permutateI19rocblas_complex_numIfEiPKPS3_EEvT0_S7_S7_T1_lS7_S7_lPS7_l,"axG",@progbits,_ZN9rocsolver6v33100L19getrf_row_permutateI19rocblas_complex_numIfEiPKPS3_EEvT0_S7_S7_T1_lS7_S7_lPS7_l,comdat
	.globl	_ZN9rocsolver6v33100L19getrf_row_permutateI19rocblas_complex_numIfEiPKPS3_EEvT0_S7_S7_T1_lS7_S7_lPS7_l ; -- Begin function _ZN9rocsolver6v33100L19getrf_row_permutateI19rocblas_complex_numIfEiPKPS3_EEvT0_S7_S7_T1_lS7_S7_lPS7_l
	.p2align	8
	.type	_ZN9rocsolver6v33100L19getrf_row_permutateI19rocblas_complex_numIfEiPKPS3_EEvT0_S7_S7_T1_lS7_S7_lPS7_l,@function
_ZN9rocsolver6v33100L19getrf_row_permutateI19rocblas_complex_numIfEiPKPS3_EEvT0_S7_S7_T1_lS7_S7_lPS7_l: ; @_ZN9rocsolver6v33100L19getrf_row_permutateI19rocblas_complex_numIfEiPKPS3_EEvT0_S7_S7_T1_lS7_S7_lPS7_l
; %bb.0:
	s_clause 0x1
	s_load_u16 s3, s[0:1], 0x4e
	s_load_b96 s[4:6], s[0:1], 0x0
	s_bfe_u32 s2, ttmp6, 0x40010
	s_and_b32 s7, ttmp7, 0xffff
	s_add_co_i32 s9, s2, 1
	s_bfe_u32 s8, ttmp6, 0x40004
	s_mul_i32 s9, s7, s9
	s_getreg_b32 s2, hwreg(HW_REG_IB_STS2, 6, 4)
	v_bfe_u32 v1, v0, 10, 10
	s_add_co_i32 s8, s8, s9
	s_cmp_eq_u32 s2, 0
	s_cselect_b32 s7, s7, s8
	s_wait_kmcnt 0x0
	v_mad_u32 v2, s7, s3, v1
	s_mov_b32 s3, 0
	s_delay_alu instid0(VALU_DEP_1) | instskip(SKIP_1) | instid1(VALU_DEP_1)
	v_cmp_le_i32_e32 vcc_lo, s5, v2
	v_cndmask_b32_e64 v3, 0, s6, vcc_lo
	v_add_nc_u32_e32 v2, v3, v2
	s_delay_alu instid0(VALU_DEP_1)
	v_cmp_gt_i32_e32 vcc_lo, s4, v2
	s_and_saveexec_b32 s4, vcc_lo
	s_cbranch_execz .LBB21_2
; %bb.1:
	s_add_nc_u64 s[8:9], s[0:1], 64
	s_bfe_u32 s11, ttmp6, 0x40008
	s_load_b32 s10, s[8:9], 0xc
	s_load_b128 s[4:7], s[0:1], 0x30
	s_wait_xcnt 0x0
	s_bfe_u32 s8, ttmp6, 0x40014
	s_lshr_b32 s9, ttmp7, 16
	s_add_co_i32 s8, s8, 1
	v_and_b32_e32 v4, 0x3ff, v0
	s_mul_i32 s8, s9, s8
	s_delay_alu instid0(SALU_CYCLE_1)
	s_add_co_i32 s11, s11, s8
	s_wait_kmcnt 0x0
	s_and_b32 s12, s10, 0xffff
	s_cmp_eq_u32 s2, 0
	v_mul_u32_u24_e32 v1, s12, v1
	s_cselect_b32 s2, s9, s11
	v_lshlrev_b32_e32 v7, 3, v4
	s_mul_u64 s[6:7], s[6:7], s[2:3]
	s_delay_alu instid0(SALU_CYCLE_1)
	s_lshl_b64 s[6:7], s[6:7], 2
	v_lshlrev_b32_e32 v1, 3, v1
	s_add_nc_u64 s[8:9], s[4:5], s[6:7]
	global_load_b32 v0, v4, s[8:9] scale_offset
	s_clause 0x1
	s_load_b64 s[10:11], s[0:1], 0x20
	s_load_b128 s[4:7], s[0:1], 0x10
	v_add3_u32 v7, 0, v7, v1
	s_wait_kmcnt 0x0
	v_mul_lo_u32 v5, v2, s11
	s_load_b64 s[0:1], s[4:5], s2 offset:0x0 scale_offset
	s_wait_xcnt 0x0
	s_lshl_b64 s[2:3], s[6:7], 3
	s_wait_kmcnt 0x0
	s_add_nc_u64 s[0:1], s[0:1], s[2:3]
	s_wait_loadcnt 0x0
	s_delay_alu instid0(VALU_DEP_1)
	v_mad_u32 v6, v0, s10, v5
	global_load_b32 v0, v0, s[8:9] scale_offset
	flat_load_b64 v[2:3], v6, s[0:1] scale_offset
	s_wait_loadcnt 0x1
	s_wait_xcnt 0x1
	v_mad_u32 v0, v0, s10, v5
	s_wait_loadcnt_dscnt 0x0
	ds_store_b64 v7, v[2:3]
	flat_load_b64 v[0:1], v0, s[0:1] scale_offset
	v_mad_u32 v2, s10, v4, v5
	s_wait_loadcnt_dscnt 0x0
	flat_store_b64 v6, v[0:1], s[0:1] scale_offset
	s_wait_storecnt_dscnt 0x0
	s_barrier_signal -1
	s_barrier_wait -1
	s_wait_xcnt 0x0
	ds_load_b64 v[0:1], v7
	s_wait_dscnt 0x0
	flat_store_b64 v2, v[0:1], s[0:1] scale_offset
.LBB21_2:
	s_endpgm
	.section	.rodata,"a",@progbits
	.p2align	6, 0x0
	.amdhsa_kernel _ZN9rocsolver6v33100L19getrf_row_permutateI19rocblas_complex_numIfEiPKPS3_EEvT0_S7_S7_T1_lS7_S7_lPS7_l
		.amdhsa_group_segment_fixed_size 0
		.amdhsa_private_segment_fixed_size 0
		.amdhsa_kernarg_size 320
		.amdhsa_user_sgpr_count 2
		.amdhsa_user_sgpr_dispatch_ptr 0
		.amdhsa_user_sgpr_queue_ptr 0
		.amdhsa_user_sgpr_kernarg_segment_ptr 1
		.amdhsa_user_sgpr_dispatch_id 0
		.amdhsa_user_sgpr_kernarg_preload_length 0
		.amdhsa_user_sgpr_kernarg_preload_offset 0
		.amdhsa_user_sgpr_private_segment_size 0
		.amdhsa_wavefront_size32 1
		.amdhsa_uses_dynamic_stack 0
		.amdhsa_enable_private_segment 0
		.amdhsa_system_sgpr_workgroup_id_x 1
		.amdhsa_system_sgpr_workgroup_id_y 1
		.amdhsa_system_sgpr_workgroup_id_z 1
		.amdhsa_system_sgpr_workgroup_info 0
		.amdhsa_system_vgpr_workitem_id 1
		.amdhsa_next_free_vgpr 8
		.amdhsa_next_free_sgpr 13
		.amdhsa_named_barrier_count 0
		.amdhsa_reserve_vcc 1
		.amdhsa_float_round_mode_32 0
		.amdhsa_float_round_mode_16_64 0
		.amdhsa_float_denorm_mode_32 3
		.amdhsa_float_denorm_mode_16_64 3
		.amdhsa_fp16_overflow 0
		.amdhsa_memory_ordered 1
		.amdhsa_forward_progress 1
		.amdhsa_inst_pref_size 4
		.amdhsa_round_robin_scheduling 0
		.amdhsa_exception_fp_ieee_invalid_op 0
		.amdhsa_exception_fp_denorm_src 0
		.amdhsa_exception_fp_ieee_div_zero 0
		.amdhsa_exception_fp_ieee_overflow 0
		.amdhsa_exception_fp_ieee_underflow 0
		.amdhsa_exception_fp_ieee_inexact 0
		.amdhsa_exception_int_div_zero 0
	.end_amdhsa_kernel
	.section	.text._ZN9rocsolver6v33100L19getrf_row_permutateI19rocblas_complex_numIfEiPKPS3_EEvT0_S7_S7_T1_lS7_S7_lPS7_l,"axG",@progbits,_ZN9rocsolver6v33100L19getrf_row_permutateI19rocblas_complex_numIfEiPKPS3_EEvT0_S7_S7_T1_lS7_S7_lPS7_l,comdat
.Lfunc_end21:
	.size	_ZN9rocsolver6v33100L19getrf_row_permutateI19rocblas_complex_numIfEiPKPS3_EEvT0_S7_S7_T1_lS7_S7_lPS7_l, .Lfunc_end21-_ZN9rocsolver6v33100L19getrf_row_permutateI19rocblas_complex_numIfEiPKPS3_EEvT0_S7_S7_T1_lS7_S7_lPS7_l
                                        ; -- End function
	.set _ZN9rocsolver6v33100L19getrf_row_permutateI19rocblas_complex_numIfEiPKPS3_EEvT0_S7_S7_T1_lS7_S7_lPS7_l.num_vgpr, 8
	.set _ZN9rocsolver6v33100L19getrf_row_permutateI19rocblas_complex_numIfEiPKPS3_EEvT0_S7_S7_T1_lS7_S7_lPS7_l.num_agpr, 0
	.set _ZN9rocsolver6v33100L19getrf_row_permutateI19rocblas_complex_numIfEiPKPS3_EEvT0_S7_S7_T1_lS7_S7_lPS7_l.numbered_sgpr, 13
	.set _ZN9rocsolver6v33100L19getrf_row_permutateI19rocblas_complex_numIfEiPKPS3_EEvT0_S7_S7_T1_lS7_S7_lPS7_l.num_named_barrier, 0
	.set _ZN9rocsolver6v33100L19getrf_row_permutateI19rocblas_complex_numIfEiPKPS3_EEvT0_S7_S7_T1_lS7_S7_lPS7_l.private_seg_size, 0
	.set _ZN9rocsolver6v33100L19getrf_row_permutateI19rocblas_complex_numIfEiPKPS3_EEvT0_S7_S7_T1_lS7_S7_lPS7_l.uses_vcc, 1
	.set _ZN9rocsolver6v33100L19getrf_row_permutateI19rocblas_complex_numIfEiPKPS3_EEvT0_S7_S7_T1_lS7_S7_lPS7_l.uses_flat_scratch, 0
	.set _ZN9rocsolver6v33100L19getrf_row_permutateI19rocblas_complex_numIfEiPKPS3_EEvT0_S7_S7_T1_lS7_S7_lPS7_l.has_dyn_sized_stack, 0
	.set _ZN9rocsolver6v33100L19getrf_row_permutateI19rocblas_complex_numIfEiPKPS3_EEvT0_S7_S7_T1_lS7_S7_lPS7_l.has_recursion, 0
	.set _ZN9rocsolver6v33100L19getrf_row_permutateI19rocblas_complex_numIfEiPKPS3_EEvT0_S7_S7_T1_lS7_S7_lPS7_l.has_indirect_call, 0
	.section	.AMDGPU.csdata,"",@progbits
; Kernel info:
; codeLenInByte = 468
; TotalNumSgprs: 15
; NumVgprs: 8
; ScratchSize: 0
; MemoryBound: 0
; FloatMode: 240
; IeeeMode: 1
; LDSByteSize: 0 bytes/workgroup (compile time only)
; SGPRBlocks: 0
; VGPRBlocks: 0
; NumSGPRsForWavesPerEU: 15
; NumVGPRsForWavesPerEU: 8
; NamedBarCnt: 0
; Occupancy: 16
; WaveLimiterHint : 1
; COMPUTE_PGM_RSRC2:SCRATCH_EN: 0
; COMPUTE_PGM_RSRC2:USER_SGPR: 2
; COMPUTE_PGM_RSRC2:TRAP_HANDLER: 0
; COMPUTE_PGM_RSRC2:TGID_X_EN: 1
; COMPUTE_PGM_RSRC2:TGID_Y_EN: 1
; COMPUTE_PGM_RSRC2:TGID_Z_EN: 1
; COMPUTE_PGM_RSRC2:TIDIG_COMP_CNT: 1
	.section	.text._ZN9rocsolver6v33100L12laswp_kernelI19rocblas_complex_numIfEiPKPS3_EEvT0_T1_lS7_S7_lS7_S7_PKS7_lS7_l,"axG",@progbits,_ZN9rocsolver6v33100L12laswp_kernelI19rocblas_complex_numIfEiPKPS3_EEvT0_T1_lS7_S7_lS7_S7_PKS7_lS7_l,comdat
	.globl	_ZN9rocsolver6v33100L12laswp_kernelI19rocblas_complex_numIfEiPKPS3_EEvT0_T1_lS7_S7_lS7_S7_PKS7_lS7_l ; -- Begin function _ZN9rocsolver6v33100L12laswp_kernelI19rocblas_complex_numIfEiPKPS3_EEvT0_T1_lS7_S7_lS7_S7_PKS7_lS7_l
	.p2align	8
	.type	_ZN9rocsolver6v33100L12laswp_kernelI19rocblas_complex_numIfEiPKPS3_EEvT0_T1_lS7_S7_lS7_S7_PKS7_lS7_l,@function
_ZN9rocsolver6v33100L12laswp_kernelI19rocblas_complex_numIfEiPKPS3_EEvT0_T1_lS7_S7_lS7_S7_PKS7_lS7_l: ; @_ZN9rocsolver6v33100L12laswp_kernelI19rocblas_complex_numIfEiPKPS3_EEvT0_T1_lS7_S7_lS7_S7_PKS7_lS7_l
; %bb.0:
	s_clause 0x1
	s_load_b32 s2, s[0:1], 0x5c
	s_load_b32 s3, s[0:1], 0x0
	s_bfe_u32 s4, ttmp6, 0x4000c
	s_and_b32 s5, ttmp6, 15
	s_add_co_i32 s6, s4, 1
	s_getreg_b32 s4, hwreg(HW_REG_IB_STS2, 6, 4)
	s_mul_i32 s6, ttmp9, s6
	s_delay_alu instid0(SALU_CYCLE_1) | instskip(SKIP_4) | instid1(SALU_CYCLE_1)
	s_add_co_i32 s5, s5, s6
	s_wait_kmcnt 0x0
	s_and_b32 s2, s2, 0xffff
	s_cmp_eq_u32 s4, 0
	s_cselect_b32 s5, ttmp9, s5
	v_mad_u32 v0, s5, s2, v0
	s_mov_b32 s2, exec_lo
	s_delay_alu instid0(VALU_DEP_1)
	v_cmpx_gt_i32_e64 s3, v0
	s_cbranch_execz .LBB22_10
; %bb.1:
	s_clause 0x1
	s_load_b32 s10, s[0:1], 0x40
	s_load_b64 s[2:3], s[0:1], 0x28
	s_bfe_u32 s5, ttmp6, 0x40010
	s_bfe_u32 s6, ttmp6, 0x40004
	s_add_co_i32 s5, s5, 1
	s_delay_alu instid0(SALU_CYCLE_1) | instskip(NEXT) | instid1(SALU_CYCLE_1)
	s_mul_i32 s5, ttmp7, s5
	s_add_co_i32 s6, s6, s5
	s_cmp_eq_u32 s4, 0
	s_cselect_b32 s4, ttmp7, s6
	s_wait_kmcnt 0x0
	s_cmp_gt_i32 s10, -1
	s_cbranch_scc0 .LBB22_3
; %bb.2:
	s_add_co_i32 s8, s3, 1
	s_mov_b32 s9, 1
	s_mov_b32 s11, s2
	s_cbranch_execz .LBB22_4
	s_branch .LBB22_5
.LBB22_3:
                                        ; implicit-def: $sgpr8
	s_mov_b32 s9, 1
	s_mov_b32 s11, s2
.LBB22_4:
	s_mov_b32 s9, -1
	s_add_co_i32 s8, s2, -1
	s_sub_co_i32 s10, 0, s10
	s_mov_b32 s11, s3
.LBB22_5:
	s_delay_alu instid0(SALU_CYCLE_1)
	s_cmp_eq_u32 s11, s8
	s_cbranch_scc1 .LBB22_10
; %bb.6:
	s_clause 0x3
	s_load_b128 s[12:15], s[0:1], 0x8
	s_load_b64 s[6:7], s[0:1], 0x18
	s_load_b128 s[16:19], s[0:1], 0x30
	s_load_b64 s[20:21], s[0:1], 0x48
	s_ashr_i32 s5, s4, 31
	s_wait_xcnt 0x0
	s_lshl_b64 s[0:1], s[4:5], 3
	s_wait_kmcnt 0x0
	s_add_nc_u64 s[0:1], s[12:13], s[0:1]
	v_mul_lo_u32 v0, v0, s7
	s_load_b64 s[12:13], s[0:1], 0x0
	s_wait_xcnt 0x0
	s_add_co_i32 s1, s11, -1
	s_sub_co_i32 s0, s11, s2
	s_lshl_b64 s[14:15], s[14:15], 3
	s_mul_i32 s0, s10, s0
	s_delay_alu instid0(SALU_CYCLE_1) | instskip(SKIP_1) | instid1(VALU_DEP_1)
	s_add_co_i32 s7, s2, s0
	s_lshl_b64 s[2:3], s[18:19], 2
	v_mad_u32 v1, s6, s1, v0
	s_mul_u64 s[0:1], s[20:21], s[4:5]
	s_mul_i32 s4, s9, s6
	s_lshl_b64 s[0:1], s[0:1], 2
	s_mul_i32 s5, s10, s9
	s_add_nc_u64 s[0:1], s[16:17], s[0:1]
	s_delay_alu instid0(SALU_CYCLE_1)
	s_add_nc_u64 s[0:1], s[0:1], s[2:3]
	s_wait_kmcnt 0x0
	s_add_nc_u64 s[2:3], s[12:13], s[14:15]
	s_branch .LBB22_8
.LBB22_7:                               ;   in Loop: Header=BB22_8 Depth=1
	s_wait_xcnt 0x1
	v_add_nc_u32_e32 v1, s4, v1
	s_add_co_i32 s11, s11, s9
	s_add_co_i32 s7, s7, s5
	s_cmp_lg_u32 s8, s11
	s_cbranch_scc0 .LBB22_10
.LBB22_8:                               ; =>This Inner Loop Header: Depth=1
	s_wait_xcnt 0x0
	v_mov_b32_e32 v2, s7
	global_load_b32 v2, v2, s[0:1] offset:-4 scale_offset
	s_wait_loadcnt 0x0
	v_cmp_eq_u32_e32 vcc_lo, s11, v2
	s_cbranch_vccnz .LBB22_7
; %bb.9:                                ;   in Loop: Header=BB22_8 Depth=1
	s_wait_xcnt 0x0
	v_add_nc_u32_e32 v2, -1, v2
	s_delay_alu instid0(VALU_DEP_1)
	v_mad_u32 v6, v2, s6, v0
	s_clause 0x1
	flat_load_b64 v[2:3], v6, s[2:3] scale_offset
	flat_load_b64 v[4:5], v1, s[2:3] scale_offset
	s_wait_loadcnt_dscnt 0x101
	flat_store_b64 v1, v[2:3], s[2:3] scale_offset
	s_wait_loadcnt_dscnt 0x1
	flat_store_b64 v6, v[4:5], s[2:3] scale_offset
	s_branch .LBB22_7
.LBB22_10:
	s_endpgm
	.section	.rodata,"a",@progbits
	.p2align	6, 0x0
	.amdhsa_kernel _ZN9rocsolver6v33100L12laswp_kernelI19rocblas_complex_numIfEiPKPS3_EEvT0_T1_lS7_S7_lS7_S7_PKS7_lS7_l
		.amdhsa_group_segment_fixed_size 0
		.amdhsa_private_segment_fixed_size 0
		.amdhsa_kernarg_size 336
		.amdhsa_user_sgpr_count 2
		.amdhsa_user_sgpr_dispatch_ptr 0
		.amdhsa_user_sgpr_queue_ptr 0
		.amdhsa_user_sgpr_kernarg_segment_ptr 1
		.amdhsa_user_sgpr_dispatch_id 0
		.amdhsa_user_sgpr_kernarg_preload_length 0
		.amdhsa_user_sgpr_kernarg_preload_offset 0
		.amdhsa_user_sgpr_private_segment_size 0
		.amdhsa_wavefront_size32 1
		.amdhsa_uses_dynamic_stack 0
		.amdhsa_enable_private_segment 0
		.amdhsa_system_sgpr_workgroup_id_x 1
		.amdhsa_system_sgpr_workgroup_id_y 1
		.amdhsa_system_sgpr_workgroup_id_z 0
		.amdhsa_system_sgpr_workgroup_info 0
		.amdhsa_system_vgpr_workitem_id 0
		.amdhsa_next_free_vgpr 7
		.amdhsa_next_free_sgpr 22
		.amdhsa_named_barrier_count 0
		.amdhsa_reserve_vcc 1
		.amdhsa_float_round_mode_32 0
		.amdhsa_float_round_mode_16_64 0
		.amdhsa_float_denorm_mode_32 3
		.amdhsa_float_denorm_mode_16_64 3
		.amdhsa_fp16_overflow 0
		.amdhsa_memory_ordered 1
		.amdhsa_forward_progress 1
		.amdhsa_inst_pref_size 5
		.amdhsa_round_robin_scheduling 0
		.amdhsa_exception_fp_ieee_invalid_op 0
		.amdhsa_exception_fp_denorm_src 0
		.amdhsa_exception_fp_ieee_div_zero 0
		.amdhsa_exception_fp_ieee_overflow 0
		.amdhsa_exception_fp_ieee_underflow 0
		.amdhsa_exception_fp_ieee_inexact 0
		.amdhsa_exception_int_div_zero 0
	.end_amdhsa_kernel
	.section	.text._ZN9rocsolver6v33100L12laswp_kernelI19rocblas_complex_numIfEiPKPS3_EEvT0_T1_lS7_S7_lS7_S7_PKS7_lS7_l,"axG",@progbits,_ZN9rocsolver6v33100L12laswp_kernelI19rocblas_complex_numIfEiPKPS3_EEvT0_T1_lS7_S7_lS7_S7_PKS7_lS7_l,comdat
.Lfunc_end22:
	.size	_ZN9rocsolver6v33100L12laswp_kernelI19rocblas_complex_numIfEiPKPS3_EEvT0_T1_lS7_S7_lS7_S7_PKS7_lS7_l, .Lfunc_end22-_ZN9rocsolver6v33100L12laswp_kernelI19rocblas_complex_numIfEiPKPS3_EEvT0_T1_lS7_S7_lS7_S7_PKS7_lS7_l
                                        ; -- End function
	.set _ZN9rocsolver6v33100L12laswp_kernelI19rocblas_complex_numIfEiPKPS3_EEvT0_T1_lS7_S7_lS7_S7_PKS7_lS7_l.num_vgpr, 7
	.set _ZN9rocsolver6v33100L12laswp_kernelI19rocblas_complex_numIfEiPKPS3_EEvT0_T1_lS7_S7_lS7_S7_PKS7_lS7_l.num_agpr, 0
	.set _ZN9rocsolver6v33100L12laswp_kernelI19rocblas_complex_numIfEiPKPS3_EEvT0_T1_lS7_S7_lS7_S7_PKS7_lS7_l.numbered_sgpr, 22
	.set _ZN9rocsolver6v33100L12laswp_kernelI19rocblas_complex_numIfEiPKPS3_EEvT0_T1_lS7_S7_lS7_S7_PKS7_lS7_l.num_named_barrier, 0
	.set _ZN9rocsolver6v33100L12laswp_kernelI19rocblas_complex_numIfEiPKPS3_EEvT0_T1_lS7_S7_lS7_S7_PKS7_lS7_l.private_seg_size, 0
	.set _ZN9rocsolver6v33100L12laswp_kernelI19rocblas_complex_numIfEiPKPS3_EEvT0_T1_lS7_S7_lS7_S7_PKS7_lS7_l.uses_vcc, 1
	.set _ZN9rocsolver6v33100L12laswp_kernelI19rocblas_complex_numIfEiPKPS3_EEvT0_T1_lS7_S7_lS7_S7_PKS7_lS7_l.uses_flat_scratch, 1
	.set _ZN9rocsolver6v33100L12laswp_kernelI19rocblas_complex_numIfEiPKPS3_EEvT0_T1_lS7_S7_lS7_S7_PKS7_lS7_l.has_dyn_sized_stack, 0
	.set _ZN9rocsolver6v33100L12laswp_kernelI19rocblas_complex_numIfEiPKPS3_EEvT0_T1_lS7_S7_lS7_S7_PKS7_lS7_l.has_recursion, 0
	.set _ZN9rocsolver6v33100L12laswp_kernelI19rocblas_complex_numIfEiPKPS3_EEvT0_T1_lS7_S7_lS7_S7_PKS7_lS7_l.has_indirect_call, 0
	.section	.AMDGPU.csdata,"",@progbits
; Kernel info:
; codeLenInByte = 524
; TotalNumSgprs: 24
; NumVgprs: 7
; ScratchSize: 0
; MemoryBound: 0
; FloatMode: 240
; IeeeMode: 1
; LDSByteSize: 0 bytes/workgroup (compile time only)
; SGPRBlocks: 0
; VGPRBlocks: 0
; NumSGPRsForWavesPerEU: 24
; NumVGPRsForWavesPerEU: 7
; NamedBarCnt: 0
; Occupancy: 16
; WaveLimiterHint : 1
; COMPUTE_PGM_RSRC2:SCRATCH_EN: 0
; COMPUTE_PGM_RSRC2:USER_SGPR: 2
; COMPUTE_PGM_RSRC2:TRAP_HANDLER: 0
; COMPUTE_PGM_RSRC2:TGID_X_EN: 1
; COMPUTE_PGM_RSRC2:TGID_Y_EN: 1
; COMPUTE_PGM_RSRC2:TGID_Z_EN: 0
; COMPUTE_PGM_RSRC2:TIDIG_COMP_CNT: 0
	.section	.text._ZN9rocsolver6v33100L6iota_nI19rocblas_complex_numIdEEEvPT_jS4_,"axG",@progbits,_ZN9rocsolver6v33100L6iota_nI19rocblas_complex_numIdEEEvPT_jS4_,comdat
	.globl	_ZN9rocsolver6v33100L6iota_nI19rocblas_complex_numIdEEEvPT_jS4_ ; -- Begin function _ZN9rocsolver6v33100L6iota_nI19rocblas_complex_numIdEEEvPT_jS4_
	.p2align	8
	.type	_ZN9rocsolver6v33100L6iota_nI19rocblas_complex_numIdEEEvPT_jS4_,@function
_ZN9rocsolver6v33100L6iota_nI19rocblas_complex_numIdEEEvPT_jS4_: ; @_ZN9rocsolver6v33100L6iota_nI19rocblas_complex_numIdEEEvPT_jS4_
; %bb.0:
	s_load_b32 s2, s[0:1], 0x8
	s_wait_kmcnt 0x0
	v_cmp_gt_u32_e32 vcc_lo, s2, v0
	s_and_saveexec_b32 s2, vcc_lo
	s_cbranch_execz .LBB23_2
; %bb.1:
	v_cvt_f64_u32_e32 v[2:3], v0
	s_load_b128 s[4:7], s[0:1], 0x10
	s_wait_kmcnt 0x0
	v_add_f64_e64 v[4:5], s[6:7], 0
	s_load_b64 s[0:1], s[0:1], 0x0
	s_delay_alu instid0(VALU_DEP_2)
	v_add_f64_e32 v[2:3], s[4:5], v[2:3]
	s_wait_kmcnt 0x0
	global_store_b128 v0, v[2:5], s[0:1] scale_offset
.LBB23_2:
	s_endpgm
	.section	.rodata,"a",@progbits
	.p2align	6, 0x0
	.amdhsa_kernel _ZN9rocsolver6v33100L6iota_nI19rocblas_complex_numIdEEEvPT_jS4_
		.amdhsa_group_segment_fixed_size 0
		.amdhsa_private_segment_fixed_size 0
		.amdhsa_kernarg_size 32
		.amdhsa_user_sgpr_count 2
		.amdhsa_user_sgpr_dispatch_ptr 0
		.amdhsa_user_sgpr_queue_ptr 0
		.amdhsa_user_sgpr_kernarg_segment_ptr 1
		.amdhsa_user_sgpr_dispatch_id 0
		.amdhsa_user_sgpr_kernarg_preload_length 0
		.amdhsa_user_sgpr_kernarg_preload_offset 0
		.amdhsa_user_sgpr_private_segment_size 0
		.amdhsa_wavefront_size32 1
		.amdhsa_uses_dynamic_stack 0
		.amdhsa_enable_private_segment 0
		.amdhsa_system_sgpr_workgroup_id_x 1
		.amdhsa_system_sgpr_workgroup_id_y 0
		.amdhsa_system_sgpr_workgroup_id_z 0
		.amdhsa_system_sgpr_workgroup_info 0
		.amdhsa_system_vgpr_workitem_id 0
		.amdhsa_next_free_vgpr 6
		.amdhsa_next_free_sgpr 8
		.amdhsa_named_barrier_count 0
		.amdhsa_reserve_vcc 1
		.amdhsa_float_round_mode_32 0
		.amdhsa_float_round_mode_16_64 0
		.amdhsa_float_denorm_mode_32 3
		.amdhsa_float_denorm_mode_16_64 3
		.amdhsa_fp16_overflow 0
		.amdhsa_memory_ordered 1
		.amdhsa_forward_progress 1
		.amdhsa_inst_pref_size 1
		.amdhsa_round_robin_scheduling 0
		.amdhsa_exception_fp_ieee_invalid_op 0
		.amdhsa_exception_fp_denorm_src 0
		.amdhsa_exception_fp_ieee_div_zero 0
		.amdhsa_exception_fp_ieee_overflow 0
		.amdhsa_exception_fp_ieee_underflow 0
		.amdhsa_exception_fp_ieee_inexact 0
		.amdhsa_exception_int_div_zero 0
	.end_amdhsa_kernel
	.section	.text._ZN9rocsolver6v33100L6iota_nI19rocblas_complex_numIdEEEvPT_jS4_,"axG",@progbits,_ZN9rocsolver6v33100L6iota_nI19rocblas_complex_numIdEEEvPT_jS4_,comdat
.Lfunc_end23:
	.size	_ZN9rocsolver6v33100L6iota_nI19rocblas_complex_numIdEEEvPT_jS4_, .Lfunc_end23-_ZN9rocsolver6v33100L6iota_nI19rocblas_complex_numIdEEEvPT_jS4_
                                        ; -- End function
	.set _ZN9rocsolver6v33100L6iota_nI19rocblas_complex_numIdEEEvPT_jS4_.num_vgpr, 6
	.set _ZN9rocsolver6v33100L6iota_nI19rocblas_complex_numIdEEEvPT_jS4_.num_agpr, 0
	.set _ZN9rocsolver6v33100L6iota_nI19rocblas_complex_numIdEEEvPT_jS4_.numbered_sgpr, 8
	.set _ZN9rocsolver6v33100L6iota_nI19rocblas_complex_numIdEEEvPT_jS4_.num_named_barrier, 0
	.set _ZN9rocsolver6v33100L6iota_nI19rocblas_complex_numIdEEEvPT_jS4_.private_seg_size, 0
	.set _ZN9rocsolver6v33100L6iota_nI19rocblas_complex_numIdEEEvPT_jS4_.uses_vcc, 1
	.set _ZN9rocsolver6v33100L6iota_nI19rocblas_complex_numIdEEEvPT_jS4_.uses_flat_scratch, 0
	.set _ZN9rocsolver6v33100L6iota_nI19rocblas_complex_numIdEEEvPT_jS4_.has_dyn_sized_stack, 0
	.set _ZN9rocsolver6v33100L6iota_nI19rocblas_complex_numIdEEEvPT_jS4_.has_recursion, 0
	.set _ZN9rocsolver6v33100L6iota_nI19rocblas_complex_numIdEEEvPT_jS4_.has_indirect_call, 0
	.section	.AMDGPU.csdata,"",@progbits
; Kernel info:
; codeLenInByte = 84
; TotalNumSgprs: 10
; NumVgprs: 6
; ScratchSize: 0
; MemoryBound: 0
; FloatMode: 240
; IeeeMode: 1
; LDSByteSize: 0 bytes/workgroup (compile time only)
; SGPRBlocks: 0
; VGPRBlocks: 0
; NumSGPRsForWavesPerEU: 10
; NumVGPRsForWavesPerEU: 6
; NamedBarCnt: 0
; Occupancy: 16
; WaveLimiterHint : 0
; COMPUTE_PGM_RSRC2:SCRATCH_EN: 0
; COMPUTE_PGM_RSRC2:USER_SGPR: 2
; COMPUTE_PGM_RSRC2:TRAP_HANDLER: 0
; COMPUTE_PGM_RSRC2:TGID_X_EN: 1
; COMPUTE_PGM_RSRC2:TGID_Y_EN: 0
; COMPUTE_PGM_RSRC2:TGID_Z_EN: 0
; COMPUTE_PGM_RSRC2:TIDIG_COMP_CNT: 0
	.section	.text._ZN9rocsolver6v33100L17getf2_permut_initI19rocblas_complex_numIdEiEEvT0_PS4_l,"axG",@progbits,_ZN9rocsolver6v33100L17getf2_permut_initI19rocblas_complex_numIdEiEEvT0_PS4_l,comdat
	.globl	_ZN9rocsolver6v33100L17getf2_permut_initI19rocblas_complex_numIdEiEEvT0_PS4_l ; -- Begin function _ZN9rocsolver6v33100L17getf2_permut_initI19rocblas_complex_numIdEiEEvT0_PS4_l
	.p2align	8
	.type	_ZN9rocsolver6v33100L17getf2_permut_initI19rocblas_complex_numIdEiEEvT0_PS4_l,@function
_ZN9rocsolver6v33100L17getf2_permut_initI19rocblas_complex_numIdEiEEvT0_PS4_l: ; @_ZN9rocsolver6v33100L17getf2_permut_initI19rocblas_complex_numIdEiEEvT0_PS4_l
; %bb.0:
	s_clause 0x1
	s_load_b32 s3, s[0:1], 0x24
	s_load_b32 s4, s[0:1], 0x0
	s_bfe_u32 s2, ttmp6, 0x4000c
	s_and_b32 s5, ttmp6, 15
	s_add_co_i32 s6, s2, 1
	s_getreg_b32 s2, hwreg(HW_REG_IB_STS2, 6, 4)
	s_mul_i32 s6, ttmp9, s6
	s_delay_alu instid0(SALU_CYCLE_1) | instskip(SKIP_4) | instid1(SALU_CYCLE_1)
	s_add_co_i32 s5, s5, s6
	s_wait_kmcnt 0x0
	s_and_b32 s3, s3, 0xffff
	s_cmp_eq_u32 s2, 0
	s_cselect_b32 s5, ttmp9, s5
	v_mad_u32 v0, s5, s3, v0
	s_mov_b32 s3, exec_lo
	s_delay_alu instid0(VALU_DEP_1)
	v_cmpx_gt_i32_e64 s4, v0
	s_cbranch_execz .LBB24_2
; %bb.1:
	s_load_b128 s[4:7], s[0:1], 0x8
	s_wait_xcnt 0x0
	s_bfe_u32 s0, ttmp6, 0x40010
	s_bfe_u32 s1, ttmp6, 0x40004
	s_add_co_i32 s0, s0, 1
	s_delay_alu instid0(SALU_CYCLE_1) | instskip(NEXT) | instid1(SALU_CYCLE_1)
	s_mul_i32 s0, ttmp7, s0
	s_add_co_i32 s1, s1, s0
	s_cmp_eq_u32 s2, 0
	s_cselect_b32 s0, ttmp7, s1
	s_delay_alu instid0(SALU_CYCLE_1) | instskip(SKIP_2) | instid1(SALU_CYCLE_1)
	s_ashr_i32 s1, s0, 31
	s_wait_kmcnt 0x0
	s_mul_u64 s[0:1], s[6:7], s[0:1]
	s_lshl_b64 s[0:1], s[0:1], 2
	s_delay_alu instid0(SALU_CYCLE_1)
	s_add_nc_u64 s[0:1], s[4:5], s[0:1]
	global_store_b32 v0, v0, s[0:1] scale_offset
.LBB24_2:
	s_endpgm
	.section	.rodata,"a",@progbits
	.p2align	6, 0x0
	.amdhsa_kernel _ZN9rocsolver6v33100L17getf2_permut_initI19rocblas_complex_numIdEiEEvT0_PS4_l
		.amdhsa_group_segment_fixed_size 0
		.amdhsa_private_segment_fixed_size 0
		.amdhsa_kernarg_size 280
		.amdhsa_user_sgpr_count 2
		.amdhsa_user_sgpr_dispatch_ptr 0
		.amdhsa_user_sgpr_queue_ptr 0
		.amdhsa_user_sgpr_kernarg_segment_ptr 1
		.amdhsa_user_sgpr_dispatch_id 0
		.amdhsa_user_sgpr_kernarg_preload_length 0
		.amdhsa_user_sgpr_kernarg_preload_offset 0
		.amdhsa_user_sgpr_private_segment_size 0
		.amdhsa_wavefront_size32 1
		.amdhsa_uses_dynamic_stack 0
		.amdhsa_enable_private_segment 0
		.amdhsa_system_sgpr_workgroup_id_x 1
		.amdhsa_system_sgpr_workgroup_id_y 1
		.amdhsa_system_sgpr_workgroup_id_z 0
		.amdhsa_system_sgpr_workgroup_info 0
		.amdhsa_system_vgpr_workitem_id 0
		.amdhsa_next_free_vgpr 1
		.amdhsa_next_free_sgpr 8
		.amdhsa_named_barrier_count 0
		.amdhsa_reserve_vcc 0
		.amdhsa_float_round_mode_32 0
		.amdhsa_float_round_mode_16_64 0
		.amdhsa_float_denorm_mode_32 3
		.amdhsa_float_denorm_mode_16_64 3
		.amdhsa_fp16_overflow 0
		.amdhsa_memory_ordered 1
		.amdhsa_forward_progress 1
		.amdhsa_inst_pref_size 2
		.amdhsa_round_robin_scheduling 0
		.amdhsa_exception_fp_ieee_invalid_op 0
		.amdhsa_exception_fp_denorm_src 0
		.amdhsa_exception_fp_ieee_div_zero 0
		.amdhsa_exception_fp_ieee_overflow 0
		.amdhsa_exception_fp_ieee_underflow 0
		.amdhsa_exception_fp_ieee_inexact 0
		.amdhsa_exception_int_div_zero 0
	.end_amdhsa_kernel
	.section	.text._ZN9rocsolver6v33100L17getf2_permut_initI19rocblas_complex_numIdEiEEvT0_PS4_l,"axG",@progbits,_ZN9rocsolver6v33100L17getf2_permut_initI19rocblas_complex_numIdEiEEvT0_PS4_l,comdat
.Lfunc_end24:
	.size	_ZN9rocsolver6v33100L17getf2_permut_initI19rocblas_complex_numIdEiEEvT0_PS4_l, .Lfunc_end24-_ZN9rocsolver6v33100L17getf2_permut_initI19rocblas_complex_numIdEiEEvT0_PS4_l
                                        ; -- End function
	.set _ZN9rocsolver6v33100L17getf2_permut_initI19rocblas_complex_numIdEiEEvT0_PS4_l.num_vgpr, 1
	.set _ZN9rocsolver6v33100L17getf2_permut_initI19rocblas_complex_numIdEiEEvT0_PS4_l.num_agpr, 0
	.set _ZN9rocsolver6v33100L17getf2_permut_initI19rocblas_complex_numIdEiEEvT0_PS4_l.numbered_sgpr, 8
	.set _ZN9rocsolver6v33100L17getf2_permut_initI19rocblas_complex_numIdEiEEvT0_PS4_l.num_named_barrier, 0
	.set _ZN9rocsolver6v33100L17getf2_permut_initI19rocblas_complex_numIdEiEEvT0_PS4_l.private_seg_size, 0
	.set _ZN9rocsolver6v33100L17getf2_permut_initI19rocblas_complex_numIdEiEEvT0_PS4_l.uses_vcc, 0
	.set _ZN9rocsolver6v33100L17getf2_permut_initI19rocblas_complex_numIdEiEEvT0_PS4_l.uses_flat_scratch, 0
	.set _ZN9rocsolver6v33100L17getf2_permut_initI19rocblas_complex_numIdEiEEvT0_PS4_l.has_dyn_sized_stack, 0
	.set _ZN9rocsolver6v33100L17getf2_permut_initI19rocblas_complex_numIdEiEEvT0_PS4_l.has_recursion, 0
	.set _ZN9rocsolver6v33100L17getf2_permut_initI19rocblas_complex_numIdEiEEvT0_PS4_l.has_indirect_call, 0
	.section	.AMDGPU.csdata,"",@progbits
; Kernel info:
; codeLenInByte = 196
; TotalNumSgprs: 8
; NumVgprs: 1
; ScratchSize: 0
; MemoryBound: 0
; FloatMode: 240
; IeeeMode: 1
; LDSByteSize: 0 bytes/workgroup (compile time only)
; SGPRBlocks: 0
; VGPRBlocks: 0
; NumSGPRsForWavesPerEU: 8
; NumVGPRsForWavesPerEU: 1
; NamedBarCnt: 0
; Occupancy: 16
; WaveLimiterHint : 0
; COMPUTE_PGM_RSRC2:SCRATCH_EN: 0
; COMPUTE_PGM_RSRC2:USER_SGPR: 2
; COMPUTE_PGM_RSRC2:TRAP_HANDLER: 0
; COMPUTE_PGM_RSRC2:TGID_X_EN: 1
; COMPUTE_PGM_RSRC2:TGID_Y_EN: 1
; COMPUTE_PGM_RSRC2:TGID_Z_EN: 0
; COMPUTE_PGM_RSRC2:TIDIG_COMP_CNT: 0
	.section	.text._ZN9rocsolver6v33100L11getf2_iamaxI19rocblas_complex_numIdEiPKPS3_EEvT0_T1_lS7_lPS7_,"axG",@progbits,_ZN9rocsolver6v33100L11getf2_iamaxI19rocblas_complex_numIdEiPKPS3_EEvT0_T1_lS7_lPS7_,comdat
	.globl	_ZN9rocsolver6v33100L11getf2_iamaxI19rocblas_complex_numIdEiPKPS3_EEvT0_T1_lS7_lPS7_ ; -- Begin function _ZN9rocsolver6v33100L11getf2_iamaxI19rocblas_complex_numIdEiPKPS3_EEvT0_T1_lS7_lPS7_
	.p2align	8
	.type	_ZN9rocsolver6v33100L11getf2_iamaxI19rocblas_complex_numIdEiPKPS3_EEvT0_T1_lS7_lPS7_,@function
_ZN9rocsolver6v33100L11getf2_iamaxI19rocblas_complex_numIdEiPKPS3_EEvT0_T1_lS7_lPS7_: ; @_ZN9rocsolver6v33100L11getf2_iamaxI19rocblas_complex_numIdEiPKPS3_EEvT0_T1_lS7_lPS7_
; %bb.0:
	s_load_b32 s8, s[0:1], 0x0
	s_bfe_u32 s2, ttmp6, 0x40010
	s_bfe_u32 s3, ttmp6, 0x40004
	s_add_co_i32 s2, s2, 1
	s_getreg_b32 s4, hwreg(HW_REG_IB_STS2, 6, 4)
	s_mul_i32 s2, ttmp7, s2
	v_mov_b64_e32 v[2:3], 0
	s_add_co_i32 s3, s3, s2
	s_cmp_eq_u32 s4, 0
	v_bfrev_b32_e32 v1, -2
	s_cselect_b32 s4, ttmp7, s3
	s_mov_b32 s10, 0
	s_ashr_i32 s5, s4, 31
	s_mov_b32 s9, exec_lo
	s_wait_kmcnt 0x0
	v_cmpx_gt_i32_e64 s8, v0
	s_cbranch_execz .LBB25_4
; %bb.1:
	s_clause 0x1
	s_load_b128 s[12:15], s[0:1], 0x8
	s_load_b32 s11, s[0:1], 0x18
	s_lshl_b64 s[2:3], s[4:5], 3
	v_mov_b64_e32 v[2:3], 0
	v_bfrev_b32_e32 v1, -2
	v_mov_b32_e32 v5, v0
	s_wait_kmcnt 0x0
	s_add_nc_u64 s[2:3], s[12:13], s[2:3]
	v_mul_lo_u32 v4, v0, s11
	s_load_b64 s[2:3], s[2:3], 0x0
	s_lshl_b64 s[6:7], s[14:15], 4
	s_lshl_b32 s11, s11, 10
	s_wait_kmcnt 0x0
	s_add_nc_u64 s[6:7], s[2:3], s[6:7]
.LBB25_2:                               ; =>This Inner Loop Header: Depth=1
	flat_load_b128 v[6:9], v4, s[6:7] scale_offset
	s_wait_xcnt 0x0
	v_add_nc_u32_e32 v4, s11, v4
	s_wait_loadcnt_dscnt 0x0
	v_cmp_gt_f64_e32 vcc_lo, 0, v[8:9]
	v_cmp_gt_f64_e64 s2, 0, v[6:7]
	v_xor_b32_e32 v10, 0x80000000, v7
	v_xor_b32_e32 v11, 0x80000000, v9
	s_delay_alu instid0(VALU_DEP_1) | instskip(SKIP_1) | instid1(VALU_DEP_2)
	v_dual_cndmask_b32 v9, v9, v11, vcc_lo :: v_dual_cndmask_b32 v7, v7, v10, s2
	v_cmp_eq_u32_e64 s2, 0x7fffffff, v1
	v_add_f64_e32 v[6:7], v[6:7], v[8:9]
	v_add_nc_u32_e32 v8, 1, v5
	s_delay_alu instid0(VALU_DEP_2) | instskip(SKIP_2) | instid1(VALU_DEP_3)
	v_cmp_lt_f64_e32 vcc_lo, v[2:3], v[6:7]
	s_or_b32 vcc_lo, vcc_lo, s2
	v_dual_cndmask_b32 v2, v2, v6 :: v_dual_add_nc_u32 v5, 0x400, v5
	v_dual_cndmask_b32 v1, v1, v8, vcc_lo :: v_dual_cndmask_b32 v3, v3, v7, vcc_lo
	s_delay_alu instid0(VALU_DEP_2) | instskip(SKIP_1) | instid1(SALU_CYCLE_1)
	v_cmp_le_i32_e64 s3, s8, v5
	s_or_b32 s10, s3, s10
	s_and_not1_b32 exec_lo, exec_lo, s10
	s_cbranch_execnz .LBB25_2
; %bb.3:
	s_or_b32 exec_lo, exec_lo, s10
.LBB25_4:
	s_delay_alu instid0(SALU_CYCLE_1)
	s_or_b32 exec_lo, exec_lo, s9
	v_dual_lshlrev_b32 v6, 3, v0 :: v_dual_lshlrev_b32 v4, 2, v0
	s_cmp_lt_i32 s8, 2
	ds_store_b64 v6, v[2:3]
	ds_store_b32 v4, v1 offset:8192
	s_wait_dscnt 0x0
	s_barrier_signal -1
	s_barrier_wait -1
	s_cbranch_scc1 .LBB25_53
; %bb.5:
	v_or_b32_e32 v7, 0x2000, v4
	s_mov_b32 s3, exec_lo
	v_cmpx_gt_u32_e32 0x200, v0
	s_cbranch_execz .LBB25_11
; %bb.6:
	ds_load_b64 v[4:5], v6 offset:4096
	ds_load_b32 v8, v7 offset:2048
	s_mov_b32 s7, exec_lo
	s_wait_dscnt 0x1
	v_cmp_lt_f64_e64 s6, v[2:3], v[4:5]
	v_cmpx_nlt_f64_e32 v[2:3], v[4:5]
	s_cbranch_execz .LBB25_8
; %bb.7:
	v_cmp_eq_f64_e32 vcc_lo, v[2:3], v[4:5]
	s_wait_dscnt 0x0
	v_cmp_gt_i32_e64 s2, v1, v8
	s_and_not1_b32 s6, s6, exec_lo
	s_and_b32 s2, vcc_lo, s2
	s_delay_alu instid0(SALU_CYCLE_1) | instskip(NEXT) | instid1(SALU_CYCLE_1)
	s_and_b32 s2, s2, exec_lo
	s_or_b32 s6, s6, s2
.LBB25_8:
	s_or_b32 exec_lo, exec_lo, s7
	s_and_saveexec_b32 s2, s6
	s_cbranch_execz .LBB25_10
; %bb.9:
	v_mov_b64_e32 v[2:3], v[4:5]
	s_wait_dscnt 0x0
	v_mov_b32_e32 v1, v8
	ds_store_b64 v6, v[4:5]
	ds_store_b32 v7, v8
.LBB25_10:
	s_or_b32 exec_lo, exec_lo, s2
.LBB25_11:
	s_delay_alu instid0(SALU_CYCLE_1) | instskip(NEXT) | instid1(SALU_CYCLE_1)
	s_or_b32 exec_lo, exec_lo, s3
	s_mov_b32 s3, exec_lo
	s_wait_dscnt 0x0
	s_barrier_signal -1
	s_barrier_wait -1
	v_cmpx_gt_u32_e32 0x100, v0
	s_cbranch_execz .LBB25_17
; %bb.12:
	ds_load_b64 v[4:5], v6 offset:2048
	ds_load_b32 v8, v7 offset:1024
	s_mov_b32 s7, exec_lo
	s_wait_dscnt 0x1
	v_cmp_lt_f64_e64 s6, v[2:3], v[4:5]
	v_cmpx_nlt_f64_e32 v[2:3], v[4:5]
	s_cbranch_execz .LBB25_14
; %bb.13:
	v_cmp_eq_f64_e32 vcc_lo, v[2:3], v[4:5]
	s_wait_dscnt 0x0
	v_cmp_gt_i32_e64 s2, v1, v8
	s_and_not1_b32 s6, s6, exec_lo
	s_and_b32 s2, vcc_lo, s2
	s_delay_alu instid0(SALU_CYCLE_1) | instskip(NEXT) | instid1(SALU_CYCLE_1)
	s_and_b32 s2, s2, exec_lo
	s_or_b32 s6, s6, s2
.LBB25_14:
	s_or_b32 exec_lo, exec_lo, s7
	s_and_saveexec_b32 s2, s6
	s_cbranch_execz .LBB25_16
; %bb.15:
	v_mov_b64_e32 v[2:3], v[4:5]
	s_wait_dscnt 0x0
	v_mov_b32_e32 v1, v8
	ds_store_b64 v6, v[4:5]
	ds_store_b32 v7, v8
.LBB25_16:
	s_or_b32 exec_lo, exec_lo, s2
.LBB25_17:
	s_delay_alu instid0(SALU_CYCLE_1) | instskip(NEXT) | instid1(SALU_CYCLE_1)
	s_or_b32 exec_lo, exec_lo, s3
	s_mov_b32 s3, exec_lo
	s_wait_dscnt 0x0
	s_barrier_signal -1
	s_barrier_wait -1
	;; [unrolled: 38-line block ×4, first 2 shown]
	v_cmpx_gt_u32_e32 32, v0
	s_cbranch_execz .LBB25_52
; %bb.30:
	ds_load_b64 v[4:5], v6 offset:256
	ds_load_b32 v8, v7 offset:128
	s_mov_b32 s7, exec_lo
	s_wait_dscnt 0x1
	v_cmp_lt_f64_e64 s3, v[2:3], v[4:5]
	v_cmpx_nlt_f64_e32 v[2:3], v[4:5]
	s_cbranch_execz .LBB25_32
; %bb.31:
	v_cmp_eq_f64_e32 vcc_lo, v[2:3], v[4:5]
	s_wait_dscnt 0x0
	v_cmp_gt_i32_e64 s2, v1, v8
	s_and_not1_b32 s3, s3, exec_lo
	s_and_b32 s2, vcc_lo, s2
	s_delay_alu instid0(SALU_CYCLE_1) | instskip(NEXT) | instid1(SALU_CYCLE_1)
	s_and_b32 s2, s2, exec_lo
	s_or_b32 s3, s3, s2
.LBB25_32:
	s_or_b32 exec_lo, exec_lo, s7
	s_and_saveexec_b32 s2, s3
	s_cbranch_execz .LBB25_34
; %bb.33:
	v_mov_b64_e32 v[2:3], v[4:5]
	s_wait_dscnt 0x0
	v_mov_b32_e32 v1, v8
	ds_store_b64 v6, v[4:5]
	ds_store_b32 v7, v8
.LBB25_34:
	s_or_b32 exec_lo, exec_lo, s2
	ds_load_b64 v[4:5], v6 offset:128
	s_wait_dscnt 0x1
	ds_load_b32 v8, v7 offset:64
	s_mov_b32 s7, exec_lo
	s_wait_dscnt 0x1
	v_cmp_lt_f64_e64 s3, v[2:3], v[4:5]
	v_cmpx_nlt_f64_e32 v[2:3], v[4:5]
	s_cbranch_execz .LBB25_36
; %bb.35:
	v_cmp_eq_f64_e32 vcc_lo, v[2:3], v[4:5]
	s_wait_dscnt 0x0
	v_cmp_gt_i32_e64 s2, v1, v8
	s_and_not1_b32 s3, s3, exec_lo
	s_and_b32 s2, vcc_lo, s2
	s_delay_alu instid0(SALU_CYCLE_1) | instskip(NEXT) | instid1(SALU_CYCLE_1)
	s_and_b32 s2, s2, exec_lo
	s_or_b32 s3, s3, s2
.LBB25_36:
	s_or_b32 exec_lo, exec_lo, s7
	s_and_saveexec_b32 s2, s3
	s_cbranch_execz .LBB25_38
; %bb.37:
	v_mov_b64_e32 v[2:3], v[4:5]
	s_wait_dscnt 0x0
	v_mov_b32_e32 v1, v8
	ds_store_b64 v6, v[4:5]
	ds_store_b32 v7, v8
.LBB25_38:
	s_or_b32 exec_lo, exec_lo, s2
	ds_load_b64 v[4:5], v6 offset:64
	s_wait_dscnt 0x1
	;; [unrolled: 29-line block ×5, first 2 shown]
	ds_load_b32 v8, v7 offset:4
	s_wait_dscnt 0x1
	v_cmp_eq_f64_e32 vcc_lo, v[2:3], v[4:5]
	v_cmp_lt_f64_e64 s2, v[2:3], v[4:5]
	s_wait_dscnt 0x0
	v_cmp_gt_i32_e64 s3, v1, v8
	s_and_b32 s3, vcc_lo, s3
	s_delay_alu instid0(SALU_CYCLE_1) | instskip(NEXT) | instid1(SALU_CYCLE_1)
	s_or_b32 s2, s2, s3
	s_and_b32 exec_lo, exec_lo, s2
	s_cbranch_execz .LBB25_52
; %bb.51:
	ds_store_b64 v6, v[4:5]
	ds_store_b32 v7, v8
.LBB25_52:
	s_or_b32 exec_lo, exec_lo, s6
.LBB25_53:
	s_delay_alu instid0(SALU_CYCLE_1)
	s_mov_b32 s2, exec_lo
	v_cmpx_eq_u32_e32 0, v0
	s_cbranch_execz .LBB25_55
; %bb.54:
	v_mov_b32_e32 v0, 0
	s_load_b64 s[0:1], s[0:1], 0x28
	s_lshl_b64 s[2:3], s[4:5], 2
	ds_load_b32 v1, v0 offset:8192
	s_wait_kmcnt 0x0
	s_add_nc_u64 s[0:1], s[0:1], s[2:3]
	s_wait_dscnt 0x0
	global_store_b32 v0, v1, s[0:1]
.LBB25_55:
	s_endpgm
	.section	.rodata,"a",@progbits
	.p2align	6, 0x0
	.amdhsa_kernel _ZN9rocsolver6v33100L11getf2_iamaxI19rocblas_complex_numIdEiPKPS3_EEvT0_T1_lS7_lPS7_
		.amdhsa_group_segment_fixed_size 12288
		.amdhsa_private_segment_fixed_size 0
		.amdhsa_kernarg_size 48
		.amdhsa_user_sgpr_count 2
		.amdhsa_user_sgpr_dispatch_ptr 0
		.amdhsa_user_sgpr_queue_ptr 0
		.amdhsa_user_sgpr_kernarg_segment_ptr 1
		.amdhsa_user_sgpr_dispatch_id 0
		.amdhsa_user_sgpr_kernarg_preload_length 0
		.amdhsa_user_sgpr_kernarg_preload_offset 0
		.amdhsa_user_sgpr_private_segment_size 0
		.amdhsa_wavefront_size32 1
		.amdhsa_uses_dynamic_stack 0
		.amdhsa_enable_private_segment 0
		.amdhsa_system_sgpr_workgroup_id_x 1
		.amdhsa_system_sgpr_workgroup_id_y 1
		.amdhsa_system_sgpr_workgroup_id_z 0
		.amdhsa_system_sgpr_workgroup_info 0
		.amdhsa_system_vgpr_workitem_id 0
		.amdhsa_next_free_vgpr 12
		.amdhsa_next_free_sgpr 16
		.amdhsa_named_barrier_count 0
		.amdhsa_reserve_vcc 1
		.amdhsa_float_round_mode_32 0
		.amdhsa_float_round_mode_16_64 0
		.amdhsa_float_denorm_mode_32 3
		.amdhsa_float_denorm_mode_16_64 3
		.amdhsa_fp16_overflow 0
		.amdhsa_memory_ordered 1
		.amdhsa_forward_progress 1
		.amdhsa_inst_pref_size 14
		.amdhsa_round_robin_scheduling 0
		.amdhsa_exception_fp_ieee_invalid_op 0
		.amdhsa_exception_fp_denorm_src 0
		.amdhsa_exception_fp_ieee_div_zero 0
		.amdhsa_exception_fp_ieee_overflow 0
		.amdhsa_exception_fp_ieee_underflow 0
		.amdhsa_exception_fp_ieee_inexact 0
		.amdhsa_exception_int_div_zero 0
	.end_amdhsa_kernel
	.section	.text._ZN9rocsolver6v33100L11getf2_iamaxI19rocblas_complex_numIdEiPKPS3_EEvT0_T1_lS7_lPS7_,"axG",@progbits,_ZN9rocsolver6v33100L11getf2_iamaxI19rocblas_complex_numIdEiPKPS3_EEvT0_T1_lS7_lPS7_,comdat
.Lfunc_end25:
	.size	_ZN9rocsolver6v33100L11getf2_iamaxI19rocblas_complex_numIdEiPKPS3_EEvT0_T1_lS7_lPS7_, .Lfunc_end25-_ZN9rocsolver6v33100L11getf2_iamaxI19rocblas_complex_numIdEiPKPS3_EEvT0_T1_lS7_lPS7_
                                        ; -- End function
	.set _ZN9rocsolver6v33100L11getf2_iamaxI19rocblas_complex_numIdEiPKPS3_EEvT0_T1_lS7_lPS7_.num_vgpr, 12
	.set _ZN9rocsolver6v33100L11getf2_iamaxI19rocblas_complex_numIdEiPKPS3_EEvT0_T1_lS7_lPS7_.num_agpr, 0
	.set _ZN9rocsolver6v33100L11getf2_iamaxI19rocblas_complex_numIdEiPKPS3_EEvT0_T1_lS7_lPS7_.numbered_sgpr, 16
	.set _ZN9rocsolver6v33100L11getf2_iamaxI19rocblas_complex_numIdEiPKPS3_EEvT0_T1_lS7_lPS7_.num_named_barrier, 0
	.set _ZN9rocsolver6v33100L11getf2_iamaxI19rocblas_complex_numIdEiPKPS3_EEvT0_T1_lS7_lPS7_.private_seg_size, 0
	.set _ZN9rocsolver6v33100L11getf2_iamaxI19rocblas_complex_numIdEiPKPS3_EEvT0_T1_lS7_lPS7_.uses_vcc, 1
	.set _ZN9rocsolver6v33100L11getf2_iamaxI19rocblas_complex_numIdEiPKPS3_EEvT0_T1_lS7_lPS7_.uses_flat_scratch, 0
	.set _ZN9rocsolver6v33100L11getf2_iamaxI19rocblas_complex_numIdEiPKPS3_EEvT0_T1_lS7_lPS7_.has_dyn_sized_stack, 0
	.set _ZN9rocsolver6v33100L11getf2_iamaxI19rocblas_complex_numIdEiPKPS3_EEvT0_T1_lS7_lPS7_.has_recursion, 0
	.set _ZN9rocsolver6v33100L11getf2_iamaxI19rocblas_complex_numIdEiPKPS3_EEvT0_T1_lS7_lPS7_.has_indirect_call, 0
	.section	.AMDGPU.csdata,"",@progbits
; Kernel info:
; codeLenInByte = 1780
; TotalNumSgprs: 18
; NumVgprs: 12
; ScratchSize: 0
; MemoryBound: 0
; FloatMode: 240
; IeeeMode: 1
; LDSByteSize: 12288 bytes/workgroup (compile time only)
; SGPRBlocks: 0
; VGPRBlocks: 0
; NumSGPRsForWavesPerEU: 18
; NumVGPRsForWavesPerEU: 12
; NamedBarCnt: 0
; Occupancy: 16
; WaveLimiterHint : 1
; COMPUTE_PGM_RSRC2:SCRATCH_EN: 0
; COMPUTE_PGM_RSRC2:USER_SGPR: 2
; COMPUTE_PGM_RSRC2:TRAP_HANDLER: 0
; COMPUTE_PGM_RSRC2:TGID_X_EN: 1
; COMPUTE_PGM_RSRC2:TGID_Y_EN: 1
; COMPUTE_PGM_RSRC2:TGID_Z_EN: 0
; COMPUTE_PGM_RSRC2:TIDIG_COMP_CNT: 0
	.section	.text._ZN9rocsolver6v33100L23getf2_check_singularityI19rocblas_complex_numIdEiiPKPS3_EEvT0_S7_T2_lS7_S7_lPS7_llPT_S9_PT1_S7_S9_l,"axG",@progbits,_ZN9rocsolver6v33100L23getf2_check_singularityI19rocblas_complex_numIdEiiPKPS3_EEvT0_S7_T2_lS7_S7_lPS7_llPT_S9_PT1_S7_S9_l,comdat
	.globl	_ZN9rocsolver6v33100L23getf2_check_singularityI19rocblas_complex_numIdEiiPKPS3_EEvT0_S7_T2_lS7_S7_lPS7_llPT_S9_PT1_S7_S9_l ; -- Begin function _ZN9rocsolver6v33100L23getf2_check_singularityI19rocblas_complex_numIdEiiPKPS3_EEvT0_S7_T2_lS7_S7_lPS7_llPT_S9_PT1_S7_S9_l
	.p2align	8
	.type	_ZN9rocsolver6v33100L23getf2_check_singularityI19rocblas_complex_numIdEiiPKPS3_EEvT0_S7_T2_lS7_S7_lPS7_llPT_S9_PT1_S7_S9_l,@function
_ZN9rocsolver6v33100L23getf2_check_singularityI19rocblas_complex_numIdEiiPKPS3_EEvT0_S7_T2_lS7_S7_lPS7_llPT_S9_PT1_S7_S9_l: ; @_ZN9rocsolver6v33100L23getf2_check_singularityI19rocblas_complex_numIdEiiPKPS3_EEvT0_S7_T2_lS7_S7_lPS7_llPT_S9_PT1_S7_S9_l
; %bb.0:
	s_clause 0x1
	s_load_b32 s5, s[2:3], 0x7c
	s_load_b64 s[20:21], s[2:3], 0x0
	s_bfe_u32 s4, ttmp6, 0x4000c
	s_and_b32 s6, ttmp6, 15
	s_add_co_i32 s7, s4, 1
	s_getreg_b32 s4, hwreg(HW_REG_IB_STS2, 6, 4)
	s_mul_i32 s7, ttmp9, s7
	v_and_b32_e32 v2, 0x3ff, v0
	s_add_co_i32 s6, s6, s7
	s_wait_kmcnt 0x0
	s_and_b32 s5, s5, 0xffff
	s_cmp_eq_u32 s4, 0
	s_cselect_b32 s6, ttmp9, s6
	s_delay_alu instid0(SALU_CYCLE_1) | instskip(SKIP_1) | instid1(VALU_DEP_1)
	v_mad_u32 v1, s6, s5, v2
	s_mov_b32 s5, exec_lo
	v_cmpx_gt_i32_e64 s20, v1
	s_cbranch_execz .LBB26_14
; %bb.1:
	s_load_b128 s[12:15], s[2:3], 0x48
	s_bfe_u32 s5, ttmp6, 0x40010
	s_load_b128 s[8:11], s[2:3], 0x8
	s_add_co_i32 s5, s5, 1
	s_bfe_u32 s6, ttmp6, 0x40004
	s_mul_i32 s5, ttmp7, s5
	s_delay_alu instid0(SALU_CYCLE_1) | instskip(SKIP_2) | instid1(SALU_CYCLE_1)
	s_add_co_i32 s6, s6, s5
	s_cmp_eq_u32 s4, 0
	s_cselect_b32 s22, ttmp7, s6
	s_ashr_i32 s23, s22, 31
	s_delay_alu instid0(SALU_CYCLE_1)
	s_lshl_b64 s[24:25], s[22:23], 2
	s_wait_kmcnt 0x0
	s_add_nc_u64 s[4:5], s[12:13], s[24:25]
	s_load_b64 s[12:13], s[2:3], 0x18
	s_load_b32 s28, s[4:5], 0x0
	s_wait_xcnt 0x0
	s_lshl_b64 s[4:5], s[22:23], 3
	s_delay_alu instid0(SALU_CYCLE_1) | instskip(SKIP_4) | instid1(SALU_CYCLE_1)
	s_add_nc_u64 s[4:5], s[8:9], s[4:5]
	s_lshl_b64 s[8:9], s[10:11], 4
	s_load_b64 s[6:7], s[4:5], 0x0
	s_wait_kmcnt 0x0
	s_add_co_i32 s30, s28, s21
	s_add_co_i32 s4, s30, -1
	s_delay_alu instid0(SALU_CYCLE_1) | instskip(SKIP_2) | instid1(SALU_CYCLE_1)
	s_cmp_eq_u32 s4, s21
	s_add_nc_u64 s[26:27], s[6:7], s[8:9]
	s_cselect_b32 s29, -1, 0
	s_and_b32 vcc_lo, exec_lo, s29
	s_cbranch_vccnz .LBB26_3
; %bb.2:
	v_mul_lo_u32 v3, v1, s13
	s_load_b64 s[6:7], s[0:1], 0x4
	v_bfe_u32 v9, v0, 10, 10
	v_bfe_u32 v0, v0, 20, 10
	s_delay_alu instid0(VALU_DEP_3) | instskip(SKIP_1) | instid1(VALU_DEP_3)
	v_mad_u32 v8, s12, s21, v3
	s_wait_kmcnt 0x0
	v_mul_u32_u24_e32 v9, s7, v9
	flat_load_b128 v[4:7], v8, s[26:27] scale_offset
	s_lshr_b32 s0, s6, 16
	s_delay_alu instid0(SALU_CYCLE_1) | instskip(NEXT) | instid1(SALU_CYCLE_1)
	s_mul_i32 s0, s0, s7
	v_mad_u32 v2, s0, v2, v9
	v_mad_u32 v9, s4, s12, v3
	s_delay_alu instid0(VALU_DEP_2)
	v_add_lshl_u32 v0, v2, v0, 4
	s_wait_loadcnt_dscnt 0x0
	ds_store_2addr_b64 v0, v[4:5], v[6:7] offset1:1
	flat_load_b128 v[2:5], v9, s[26:27] scale_offset
	s_wait_loadcnt_dscnt 0x0
	flat_store_b128 v8, v[2:5], s[26:27] scale_offset
	s_wait_xcnt 0x0
	ds_load_2addr_b64 v[2:5], v0 offset1:1
	s_wait_dscnt 0x0
	flat_store_b128 v9, v[2:5], s[26:27] scale_offset
.LBB26_3:
	v_cmp_eq_u32_e32 vcc_lo, s21, v1
	s_wait_xcnt 0x0
	s_and_b32 exec_lo, exec_lo, vcc_lo
	s_cbranch_execz .LBB26_14
; %bb.4:
	s_clause 0x2
	s_load_b256 s[4:11], s[2:3], 0x28
	s_load_b32 s20, s[2:3], 0x58
	s_load_b128 s[16:19], s[2:3], 0x60
	s_wait_kmcnt 0x0
	s_mul_u64 s[0:1], s[8:9], s[22:23]
	s_lshl_b64 s[2:3], s[6:7], 2
	s_add_co_i32 s6, s30, s20
	s_lshl_b64 s[0:1], s[0:1], 2
	s_cmp_eq_u64 s[16:17], 0
	v_dual_mov_b32 v0, s21 :: v_dual_mov_b32 v1, s6
	s_cselect_b32 s6, -1, 0
	s_add_nc_u64 s[0:1], s[4:5], s[0:1]
	s_or_b32 s4, s6, s29
	s_add_nc_u64 s[0:1], s[0:1], s[2:3]
	s_and_b32 vcc_lo, exec_lo, s4
	global_store_b32 v0, v1, s[0:1] scale_offset
	s_cbranch_vccnz .LBB26_6
; %bb.5:
	s_wait_xcnt 0x0
	s_mul_u64 s[0:1], s[18:19], s[22:23]
	s_ashr_i32 s3, s21, 31
	s_lshl_b64 s[0:1], s[0:1], 2
	s_mov_b32 s2, s21
	v_dual_mov_b32 v0, s28 :: v_dual_mov_b32 v1, 0
	s_add_nc_u64 s[0:1], s[16:17], s[0:1]
	s_lshl_b64 s[2:3], s[2:3], 2
	s_delay_alu instid0(SALU_CYCLE_1)
	s_add_nc_u64 s[0:1], s[0:1], s[2:3]
	s_clause 0x1
	global_load_b32 v2, v0, s[0:1] offset:-4 scale_offset
	global_load_b32 v3, v1, s[0:1]
	s_wait_loadcnt 0x1
	global_store_b32 v1, v2, s[0:1]
	s_wait_loadcnt 0x0
	global_store_b32 v0, v3, s[0:1] offset:-4 scale_offset
.LBB26_6:
	s_wait_xcnt 0x0
	s_add_co_i32 s0, s13, s12
	s_delay_alu instid0(SALU_CYCLE_1) | instskip(NEXT) | instid1(SALU_CYCLE_1)
	s_mul_i32 s0, s0, s21
	v_mov_b32_e32 v0, s0
	flat_load_b128 v[0:3], v0, s[26:27] scale_offset
	s_wait_loadcnt_dscnt 0x0
	v_cmp_neq_f64_e32 vcc_lo, 0, v[0:1]
	v_cmp_neq_f64_e64 s0, 0, v[2:3]
	s_or_b32 s0, vcc_lo, s0
	s_wait_xcnt 0x0
	s_and_saveexec_b32 s1, s0
	s_delay_alu instid0(SALU_CYCLE_1)
	s_xor_b32 s0, exec_lo, s1
	s_cbranch_execz .LBB26_12
; %bb.7:
	v_cmp_ngt_f64_e64 s1, |v[0:1]|, |v[2:3]|
                                        ; implicit-def: $vgpr4_vgpr5
	s_and_saveexec_b32 s2, s1
	s_delay_alu instid0(SALU_CYCLE_1)
	s_xor_b32 s1, exec_lo, s2
	s_cbranch_execz .LBB26_9
; %bb.8:
	v_div_scale_f64 v[4:5], null, v[2:3], v[2:3], v[0:1]
	v_div_scale_f64 v[10:11], vcc_lo, v[0:1], v[2:3], v[0:1]
	s_delay_alu instid0(VALU_DEP_2) | instskip(SKIP_1) | instid1(TRANS32_DEP_1)
	v_rcp_f64_e32 v[6:7], v[4:5]
	v_nop
	v_fma_f64 v[8:9], -v[4:5], v[6:7], 1.0
	s_delay_alu instid0(VALU_DEP_1) | instskip(NEXT) | instid1(VALU_DEP_1)
	v_fmac_f64_e32 v[6:7], v[6:7], v[8:9]
	v_fma_f64 v[8:9], -v[4:5], v[6:7], 1.0
	s_delay_alu instid0(VALU_DEP_1) | instskip(NEXT) | instid1(VALU_DEP_1)
	v_fmac_f64_e32 v[6:7], v[6:7], v[8:9]
	v_mul_f64_e32 v[8:9], v[10:11], v[6:7]
	s_delay_alu instid0(VALU_DEP_1) | instskip(NEXT) | instid1(VALU_DEP_1)
	v_fma_f64 v[4:5], -v[4:5], v[8:9], v[10:11]
	v_div_fmas_f64 v[4:5], v[4:5], v[6:7], v[8:9]
	s_delay_alu instid0(VALU_DEP_1) | instskip(NEXT) | instid1(VALU_DEP_1)
	v_div_fixup_f64 v[4:5], v[4:5], v[2:3], v[0:1]
	v_fmac_f64_e32 v[2:3], v[0:1], v[4:5]
	s_delay_alu instid0(VALU_DEP_1) | instskip(NEXT) | instid1(VALU_DEP_1)
	v_div_scale_f64 v[0:1], null, v[2:3], v[2:3], 1.0
	v_rcp_f64_e32 v[6:7], v[0:1]
	v_nop
	s_delay_alu instid0(TRANS32_DEP_1) | instskip(NEXT) | instid1(VALU_DEP_1)
	v_fma_f64 v[8:9], -v[0:1], v[6:7], 1.0
	v_fmac_f64_e32 v[6:7], v[6:7], v[8:9]
	s_delay_alu instid0(VALU_DEP_1) | instskip(NEXT) | instid1(VALU_DEP_1)
	v_fma_f64 v[8:9], -v[0:1], v[6:7], 1.0
	v_fmac_f64_e32 v[6:7], v[6:7], v[8:9]
	v_div_scale_f64 v[8:9], vcc_lo, 1.0, v[2:3], 1.0
	s_delay_alu instid0(VALU_DEP_1) | instskip(NEXT) | instid1(VALU_DEP_1)
	v_mul_f64_e32 v[10:11], v[8:9], v[6:7]
	v_fma_f64 v[0:1], -v[0:1], v[10:11], v[8:9]
	s_delay_alu instid0(VALU_DEP_1) | instskip(NEXT) | instid1(VALU_DEP_1)
	v_div_fmas_f64 v[0:1], v[0:1], v[6:7], v[10:11]
	v_div_fixup_f64 v[6:7], v[0:1], v[2:3], 1.0
                                        ; implicit-def: $vgpr0_vgpr1
	s_delay_alu instid0(VALU_DEP_1)
	v_mul_f64_e32 v[4:5], v[4:5], v[6:7]
	v_xor_b32_e32 v7, 0x80000000, v7
.LBB26_9:
	s_and_not1_saveexec_b32 s1, s1
	s_cbranch_execz .LBB26_11
; %bb.10:
	v_div_scale_f64 v[4:5], null, v[0:1], v[0:1], v[2:3]
	v_div_scale_f64 v[10:11], vcc_lo, v[2:3], v[0:1], v[2:3]
	s_delay_alu instid0(VALU_DEP_2) | instskip(SKIP_1) | instid1(TRANS32_DEP_1)
	v_rcp_f64_e32 v[6:7], v[4:5]
	v_nop
	v_fma_f64 v[8:9], -v[4:5], v[6:7], 1.0
	s_delay_alu instid0(VALU_DEP_1) | instskip(NEXT) | instid1(VALU_DEP_1)
	v_fmac_f64_e32 v[6:7], v[6:7], v[8:9]
	v_fma_f64 v[8:9], -v[4:5], v[6:7], 1.0
	s_delay_alu instid0(VALU_DEP_1) | instskip(NEXT) | instid1(VALU_DEP_1)
	v_fmac_f64_e32 v[6:7], v[6:7], v[8:9]
	v_mul_f64_e32 v[8:9], v[10:11], v[6:7]
	s_delay_alu instid0(VALU_DEP_1) | instskip(NEXT) | instid1(VALU_DEP_1)
	v_fma_f64 v[4:5], -v[4:5], v[8:9], v[10:11]
	v_div_fmas_f64 v[4:5], v[4:5], v[6:7], v[8:9]
	s_delay_alu instid0(VALU_DEP_1) | instskip(NEXT) | instid1(VALU_DEP_1)
	v_div_fixup_f64 v[6:7], v[4:5], v[0:1], v[2:3]
	v_fmac_f64_e32 v[0:1], v[2:3], v[6:7]
	s_delay_alu instid0(VALU_DEP_1) | instskip(NEXT) | instid1(VALU_DEP_1)
	v_div_scale_f64 v[2:3], null, v[0:1], v[0:1], 1.0
	v_rcp_f64_e32 v[4:5], v[2:3]
	v_nop
	s_delay_alu instid0(TRANS32_DEP_1) | instskip(NEXT) | instid1(VALU_DEP_1)
	v_fma_f64 v[8:9], -v[2:3], v[4:5], 1.0
	v_fmac_f64_e32 v[4:5], v[4:5], v[8:9]
	s_delay_alu instid0(VALU_DEP_1) | instskip(NEXT) | instid1(VALU_DEP_1)
	v_fma_f64 v[8:9], -v[2:3], v[4:5], 1.0
	v_fmac_f64_e32 v[4:5], v[4:5], v[8:9]
	v_div_scale_f64 v[8:9], vcc_lo, 1.0, v[0:1], 1.0
	s_delay_alu instid0(VALU_DEP_1) | instskip(NEXT) | instid1(VALU_DEP_1)
	v_mul_f64_e32 v[10:11], v[8:9], v[4:5]
	v_fma_f64 v[2:3], -v[2:3], v[10:11], v[8:9]
	s_delay_alu instid0(VALU_DEP_1) | instskip(NEXT) | instid1(VALU_DEP_1)
	v_div_fmas_f64 v[2:3], v[2:3], v[4:5], v[10:11]
	v_div_fixup_f64 v[4:5], v[2:3], v[0:1], 1.0
	s_delay_alu instid0(VALU_DEP_1)
	v_mul_f64_e64 v[6:7], v[6:7], -v[4:5]
.LBB26_11:
	s_or_b32 exec_lo, exec_lo, s1
	v_mov_b32_e32 v0, 0
	s_lshl_b64 s[2:3], s[22:23], 4
	s_delay_alu instid0(SALU_CYCLE_1)
	s_add_nc_u64 s[2:3], s[10:11], s[2:3]
	global_store_b128 v0, v[4:7], s[2:3]
.LBB26_12:
	s_wait_xcnt 0x0
	s_and_not1_saveexec_b32 s0, s0
	s_cbranch_execz .LBB26_14
; %bb.13:
	v_dual_mov_b32 v0, 0 :: v_dual_mov_b32 v1, 0x3ff00000
	s_add_nc_u64 s[0:1], s[14:15], s[24:25]
	s_lshl_b64 s[2:3], s[22:23], 4
	s_delay_alu instid0(SALU_CYCLE_1)
	s_add_nc_u64 s[2:3], s[10:11], s[2:3]
	global_load_b32 v2, v0, s[0:1]
	v_mov_b32_e32 v3, v0
	s_wait_loadcnt 0x0
	v_cmp_ne_u32_e32 vcc_lo, 0, v2
	v_mov_b32_e32 v2, v0
	global_store_b128 v0, v[0:3], s[2:3]
	s_cbranch_vccz .LBB26_15
.LBB26_14:
	s_endpgm
.LBB26_15:
	s_wait_xcnt 0x0
	s_add_co_i32 s2, s21, s20
	s_delay_alu instid0(SALU_CYCLE_1) | instskip(NEXT) | instid1(SALU_CYCLE_1)
	s_add_co_i32 s2, s2, 1
	v_mov_b32_e32 v1, s2
	global_store_b32 v0, v1, s[0:1]
	s_endpgm
	.section	.rodata,"a",@progbits
	.p2align	6, 0x0
	.amdhsa_kernel _ZN9rocsolver6v33100L23getf2_check_singularityI19rocblas_complex_numIdEiiPKPS3_EEvT0_S7_T2_lS7_S7_lPS7_llPT_S9_PT1_S7_S9_l
		.amdhsa_group_segment_fixed_size 16384
		.amdhsa_private_segment_fixed_size 0
		.amdhsa_kernarg_size 368
		.amdhsa_user_sgpr_count 4
		.amdhsa_user_sgpr_dispatch_ptr 1
		.amdhsa_user_sgpr_queue_ptr 0
		.amdhsa_user_sgpr_kernarg_segment_ptr 1
		.amdhsa_user_sgpr_dispatch_id 0
		.amdhsa_user_sgpr_kernarg_preload_length 0
		.amdhsa_user_sgpr_kernarg_preload_offset 0
		.amdhsa_user_sgpr_private_segment_size 0
		.amdhsa_wavefront_size32 1
		.amdhsa_uses_dynamic_stack 0
		.amdhsa_enable_private_segment 0
		.amdhsa_system_sgpr_workgroup_id_x 1
		.amdhsa_system_sgpr_workgroup_id_y 1
		.amdhsa_system_sgpr_workgroup_id_z 0
		.amdhsa_system_sgpr_workgroup_info 0
		.amdhsa_system_vgpr_workitem_id 2
		.amdhsa_next_free_vgpr 12
		.amdhsa_next_free_sgpr 31
		.amdhsa_named_barrier_count 0
		.amdhsa_reserve_vcc 1
		.amdhsa_float_round_mode_32 0
		.amdhsa_float_round_mode_16_64 0
		.amdhsa_float_denorm_mode_32 3
		.amdhsa_float_denorm_mode_16_64 3
		.amdhsa_fp16_overflow 0
		.amdhsa_memory_ordered 1
		.amdhsa_forward_progress 1
		.amdhsa_inst_pref_size 11
		.amdhsa_round_robin_scheduling 0
		.amdhsa_exception_fp_ieee_invalid_op 0
		.amdhsa_exception_fp_denorm_src 0
		.amdhsa_exception_fp_ieee_div_zero 0
		.amdhsa_exception_fp_ieee_overflow 0
		.amdhsa_exception_fp_ieee_underflow 0
		.amdhsa_exception_fp_ieee_inexact 0
		.amdhsa_exception_int_div_zero 0
	.end_amdhsa_kernel
	.section	.text._ZN9rocsolver6v33100L23getf2_check_singularityI19rocblas_complex_numIdEiiPKPS3_EEvT0_S7_T2_lS7_S7_lPS7_llPT_S9_PT1_S7_S9_l,"axG",@progbits,_ZN9rocsolver6v33100L23getf2_check_singularityI19rocblas_complex_numIdEiiPKPS3_EEvT0_S7_T2_lS7_S7_lPS7_llPT_S9_PT1_S7_S9_l,comdat
.Lfunc_end26:
	.size	_ZN9rocsolver6v33100L23getf2_check_singularityI19rocblas_complex_numIdEiiPKPS3_EEvT0_S7_T2_lS7_S7_lPS7_llPT_S9_PT1_S7_S9_l, .Lfunc_end26-_ZN9rocsolver6v33100L23getf2_check_singularityI19rocblas_complex_numIdEiiPKPS3_EEvT0_S7_T2_lS7_S7_lPS7_llPT_S9_PT1_S7_S9_l
                                        ; -- End function
	.set _ZN9rocsolver6v33100L23getf2_check_singularityI19rocblas_complex_numIdEiiPKPS3_EEvT0_S7_T2_lS7_S7_lPS7_llPT_S9_PT1_S7_S9_l.num_vgpr, 12
	.set _ZN9rocsolver6v33100L23getf2_check_singularityI19rocblas_complex_numIdEiiPKPS3_EEvT0_S7_T2_lS7_S7_lPS7_llPT_S9_PT1_S7_S9_l.num_agpr, 0
	.set _ZN9rocsolver6v33100L23getf2_check_singularityI19rocblas_complex_numIdEiiPKPS3_EEvT0_S7_T2_lS7_S7_lPS7_llPT_S9_PT1_S7_S9_l.numbered_sgpr, 31
	.set _ZN9rocsolver6v33100L23getf2_check_singularityI19rocblas_complex_numIdEiiPKPS3_EEvT0_S7_T2_lS7_S7_lPS7_llPT_S9_PT1_S7_S9_l.num_named_barrier, 0
	.set _ZN9rocsolver6v33100L23getf2_check_singularityI19rocblas_complex_numIdEiiPKPS3_EEvT0_S7_T2_lS7_S7_lPS7_llPT_S9_PT1_S7_S9_l.private_seg_size, 0
	.set _ZN9rocsolver6v33100L23getf2_check_singularityI19rocblas_complex_numIdEiiPKPS3_EEvT0_S7_T2_lS7_S7_lPS7_llPT_S9_PT1_S7_S9_l.uses_vcc, 1
	.set _ZN9rocsolver6v33100L23getf2_check_singularityI19rocblas_complex_numIdEiiPKPS3_EEvT0_S7_T2_lS7_S7_lPS7_llPT_S9_PT1_S7_S9_l.uses_flat_scratch, 0
	.set _ZN9rocsolver6v33100L23getf2_check_singularityI19rocblas_complex_numIdEiiPKPS3_EEvT0_S7_T2_lS7_S7_lPS7_llPT_S9_PT1_S7_S9_l.has_dyn_sized_stack, 0
	.set _ZN9rocsolver6v33100L23getf2_check_singularityI19rocblas_complex_numIdEiiPKPS3_EEvT0_S7_T2_lS7_S7_lPS7_llPT_S9_PT1_S7_S9_l.has_recursion, 0
	.set _ZN9rocsolver6v33100L23getf2_check_singularityI19rocblas_complex_numIdEiiPKPS3_EEvT0_S7_T2_lS7_S7_lPS7_llPT_S9_PT1_S7_S9_l.has_indirect_call, 0
	.section	.AMDGPU.csdata,"",@progbits
; Kernel info:
; codeLenInByte = 1328
; TotalNumSgprs: 33
; NumVgprs: 12
; ScratchSize: 0
; MemoryBound: 0
; FloatMode: 240
; IeeeMode: 1
; LDSByteSize: 16384 bytes/workgroup (compile time only)
; SGPRBlocks: 0
; VGPRBlocks: 0
; NumSGPRsForWavesPerEU: 33
; NumVGPRsForWavesPerEU: 12
; NamedBarCnt: 0
; Occupancy: 16
; WaveLimiterHint : 1
; COMPUTE_PGM_RSRC2:SCRATCH_EN: 0
; COMPUTE_PGM_RSRC2:USER_SGPR: 4
; COMPUTE_PGM_RSRC2:TRAP_HANDLER: 0
; COMPUTE_PGM_RSRC2:TGID_X_EN: 1
; COMPUTE_PGM_RSRC2:TGID_Y_EN: 1
; COMPUTE_PGM_RSRC2:TGID_Z_EN: 0
; COMPUTE_PGM_RSRC2:TIDIG_COMP_CNT: 2
	.section	.text._ZN9rocsolver6v33100L28getf2_npvt_check_singularityI19rocblas_complex_numIdEiiPKPS3_EEvT0_T2_lS7_S7_lPT_PT1_S7_,"axG",@progbits,_ZN9rocsolver6v33100L28getf2_npvt_check_singularityI19rocblas_complex_numIdEiiPKPS3_EEvT0_T2_lS7_S7_lPT_PT1_S7_,comdat
	.globl	_ZN9rocsolver6v33100L28getf2_npvt_check_singularityI19rocblas_complex_numIdEiiPKPS3_EEvT0_T2_lS7_S7_lPT_PT1_S7_ ; -- Begin function _ZN9rocsolver6v33100L28getf2_npvt_check_singularityI19rocblas_complex_numIdEiiPKPS3_EEvT0_T2_lS7_S7_lPT_PT1_S7_
	.p2align	8
	.type	_ZN9rocsolver6v33100L28getf2_npvt_check_singularityI19rocblas_complex_numIdEiiPKPS3_EEvT0_T2_lS7_S7_lPT_PT1_S7_,@function
_ZN9rocsolver6v33100L28getf2_npvt_check_singularityI19rocblas_complex_numIdEiiPKPS3_EEvT0_T2_lS7_S7_lPT_PT1_S7_: ; @_ZN9rocsolver6v33100L28getf2_npvt_check_singularityI19rocblas_complex_numIdEiiPKPS3_EEvT0_T2_lS7_S7_lPT_PT1_S7_
; %bb.0:
	s_clause 0x1
	s_load_b128 s[12:15], s[0:1], 0x8
	s_load_b32 s10, s[0:1], 0x0
	s_bfe_u32 s2, ttmp6, 0x40010
	s_bfe_u32 s3, ttmp6, 0x40004
	s_add_co_i32 s2, s2, 1
	s_getreg_b32 s4, hwreg(HW_REG_IB_STS2, 6, 4)
	s_mul_i32 s2, ttmp7, s2
	s_delay_alu instid0(SALU_CYCLE_1) | instskip(SKIP_4) | instid1(SALU_CYCLE_1)
	s_add_co_i32 s3, s3, s2
	s_cmp_eq_u32 s4, 0
	s_cselect_b32 s8, ttmp7, s3
	s_load_b64 s[2:3], s[0:1], 0x18
	s_ashr_i32 s9, s8, 31
	s_lshl_b64 s[4:5], s[8:9], 3
	s_wait_kmcnt 0x0
	s_add_nc_u64 s[12:13], s[12:13], s[4:5]
	s_load_b64 s[16:17], s[12:13], 0x0
	s_load_b128 s[4:7], s[0:1], 0x28
	s_add_co_i32 s2, s3, s2
	s_delay_alu instid0(SALU_CYCLE_1) | instskip(NEXT) | instid1(SALU_CYCLE_1)
	s_mul_i32 s2, s2, s10
	v_mov_b32_e32 v0, s2
	s_lshl_b64 s[2:3], s[14:15], 4
	s_wait_kmcnt 0x0
	s_add_nc_u64 s[2:3], s[16:17], s[2:3]
	flat_load_b128 v[0:3], v0, s[2:3] scale_offset
	s_wait_loadcnt_dscnt 0x0
	v_cmp_neq_f64_e32 vcc_lo, 0, v[0:1]
	v_cmp_neq_f64_e64 s2, 0, v[2:3]
	s_or_b32 s2, vcc_lo, s2
	s_delay_alu instid0(SALU_CYCLE_1) | instskip(NEXT) | instid1(SALU_CYCLE_1)
	s_and_saveexec_b32 s3, s2
	s_xor_b32 s2, exec_lo, s3
	s_cbranch_execz .LBB27_6
; %bb.1:
	v_cmp_ngt_f64_e64 s3, |v[0:1]|, |v[2:3]|
                                        ; implicit-def: $vgpr4_vgpr5
	s_and_saveexec_b32 s11, s3
	s_delay_alu instid0(SALU_CYCLE_1)
	s_xor_b32 s3, exec_lo, s11
	s_cbranch_execz .LBB27_3
; %bb.2:
	v_div_scale_f64 v[4:5], null, v[2:3], v[2:3], v[0:1]
	v_div_scale_f64 v[10:11], vcc_lo, v[0:1], v[2:3], v[0:1]
	s_delay_alu instid0(VALU_DEP_2) | instskip(SKIP_1) | instid1(TRANS32_DEP_1)
	v_rcp_f64_e32 v[6:7], v[4:5]
	v_nop
	v_fma_f64 v[8:9], -v[4:5], v[6:7], 1.0
	s_delay_alu instid0(VALU_DEP_1) | instskip(NEXT) | instid1(VALU_DEP_1)
	v_fmac_f64_e32 v[6:7], v[6:7], v[8:9]
	v_fma_f64 v[8:9], -v[4:5], v[6:7], 1.0
	s_delay_alu instid0(VALU_DEP_1) | instskip(NEXT) | instid1(VALU_DEP_1)
	v_fmac_f64_e32 v[6:7], v[6:7], v[8:9]
	v_mul_f64_e32 v[8:9], v[10:11], v[6:7]
	s_delay_alu instid0(VALU_DEP_1) | instskip(NEXT) | instid1(VALU_DEP_1)
	v_fma_f64 v[4:5], -v[4:5], v[8:9], v[10:11]
	v_div_fmas_f64 v[4:5], v[4:5], v[6:7], v[8:9]
	s_delay_alu instid0(VALU_DEP_1) | instskip(NEXT) | instid1(VALU_DEP_1)
	v_div_fixup_f64 v[4:5], v[4:5], v[2:3], v[0:1]
	v_fmac_f64_e32 v[2:3], v[0:1], v[4:5]
	s_delay_alu instid0(VALU_DEP_1) | instskip(NEXT) | instid1(VALU_DEP_1)
	v_div_scale_f64 v[0:1], null, v[2:3], v[2:3], 1.0
	v_rcp_f64_e32 v[6:7], v[0:1]
	v_nop
	s_delay_alu instid0(TRANS32_DEP_1) | instskip(NEXT) | instid1(VALU_DEP_1)
	v_fma_f64 v[8:9], -v[0:1], v[6:7], 1.0
	v_fmac_f64_e32 v[6:7], v[6:7], v[8:9]
	s_delay_alu instid0(VALU_DEP_1) | instskip(NEXT) | instid1(VALU_DEP_1)
	v_fma_f64 v[8:9], -v[0:1], v[6:7], 1.0
	v_fmac_f64_e32 v[6:7], v[6:7], v[8:9]
	v_div_scale_f64 v[8:9], vcc_lo, 1.0, v[2:3], 1.0
	s_delay_alu instid0(VALU_DEP_1) | instskip(NEXT) | instid1(VALU_DEP_1)
	v_mul_f64_e32 v[10:11], v[8:9], v[6:7]
	v_fma_f64 v[0:1], -v[0:1], v[10:11], v[8:9]
	s_delay_alu instid0(VALU_DEP_1) | instskip(NEXT) | instid1(VALU_DEP_1)
	v_div_fmas_f64 v[0:1], v[0:1], v[6:7], v[10:11]
	v_div_fixup_f64 v[6:7], v[0:1], v[2:3], 1.0
                                        ; implicit-def: $vgpr0_vgpr1
	s_delay_alu instid0(VALU_DEP_1)
	v_mul_f64_e32 v[4:5], v[4:5], v[6:7]
	v_xor_b32_e32 v7, 0x80000000, v7
.LBB27_3:
	s_and_not1_saveexec_b32 s3, s3
	s_cbranch_execz .LBB27_5
; %bb.4:
	v_div_scale_f64 v[4:5], null, v[0:1], v[0:1], v[2:3]
	v_div_scale_f64 v[10:11], vcc_lo, v[2:3], v[0:1], v[2:3]
	s_delay_alu instid0(VALU_DEP_2) | instskip(SKIP_1) | instid1(TRANS32_DEP_1)
	v_rcp_f64_e32 v[6:7], v[4:5]
	v_nop
	v_fma_f64 v[8:9], -v[4:5], v[6:7], 1.0
	s_delay_alu instid0(VALU_DEP_1) | instskip(NEXT) | instid1(VALU_DEP_1)
	v_fmac_f64_e32 v[6:7], v[6:7], v[8:9]
	v_fma_f64 v[8:9], -v[4:5], v[6:7], 1.0
	s_delay_alu instid0(VALU_DEP_1) | instskip(NEXT) | instid1(VALU_DEP_1)
	v_fmac_f64_e32 v[6:7], v[6:7], v[8:9]
	v_mul_f64_e32 v[8:9], v[10:11], v[6:7]
	s_delay_alu instid0(VALU_DEP_1) | instskip(NEXT) | instid1(VALU_DEP_1)
	v_fma_f64 v[4:5], -v[4:5], v[8:9], v[10:11]
	v_div_fmas_f64 v[4:5], v[4:5], v[6:7], v[8:9]
	s_delay_alu instid0(VALU_DEP_1) | instskip(NEXT) | instid1(VALU_DEP_1)
	v_div_fixup_f64 v[6:7], v[4:5], v[0:1], v[2:3]
	v_fmac_f64_e32 v[0:1], v[2:3], v[6:7]
	s_delay_alu instid0(VALU_DEP_1) | instskip(NEXT) | instid1(VALU_DEP_1)
	v_div_scale_f64 v[2:3], null, v[0:1], v[0:1], 1.0
	v_rcp_f64_e32 v[4:5], v[2:3]
	v_nop
	s_delay_alu instid0(TRANS32_DEP_1) | instskip(NEXT) | instid1(VALU_DEP_1)
	v_fma_f64 v[8:9], -v[2:3], v[4:5], 1.0
	v_fmac_f64_e32 v[4:5], v[4:5], v[8:9]
	s_delay_alu instid0(VALU_DEP_1) | instskip(NEXT) | instid1(VALU_DEP_1)
	v_fma_f64 v[8:9], -v[2:3], v[4:5], 1.0
	v_fmac_f64_e32 v[4:5], v[4:5], v[8:9]
	v_div_scale_f64 v[8:9], vcc_lo, 1.0, v[0:1], 1.0
	s_delay_alu instid0(VALU_DEP_1) | instskip(NEXT) | instid1(VALU_DEP_1)
	v_mul_f64_e32 v[10:11], v[8:9], v[4:5]
	v_fma_f64 v[2:3], -v[2:3], v[10:11], v[8:9]
	s_delay_alu instid0(VALU_DEP_1) | instskip(NEXT) | instid1(VALU_DEP_1)
	v_div_fmas_f64 v[2:3], v[2:3], v[4:5], v[10:11]
	v_div_fixup_f64 v[4:5], v[2:3], v[0:1], 1.0
	s_delay_alu instid0(VALU_DEP_1)
	v_mul_f64_e64 v[6:7], v[6:7], -v[4:5]
.LBB27_5:
	s_or_b32 exec_lo, exec_lo, s3
	v_mov_b32_e32 v0, 0
	s_lshl_b64 s[12:13], s[8:9], 4
	s_delay_alu instid0(SALU_CYCLE_1)
	s_add_nc_u64 s[12:13], s[4:5], s[12:13]
	global_store_b128 v0, v[4:7], s[12:13]
.LBB27_6:
	s_wait_xcnt 0x0
	s_and_not1_saveexec_b32 s2, s2
	s_cbranch_execz .LBB27_8
; %bb.7:
	s_lshl_b64 s[2:3], s[8:9], 2
	v_dual_mov_b32 v0, 0 :: v_dual_mov_b32 v1, 0x3ff00000
	s_add_nc_u64 s[2:3], s[6:7], s[2:3]
	s_lshl_b64 s[6:7], s[8:9], 4
	s_load_b32 s11, s[2:3], 0x0
	s_delay_alu instid0(VALU_DEP_1)
	v_dual_mov_b32 v2, v0 :: v_dual_mov_b32 v3, v0
	s_add_nc_u64 s[4:5], s[4:5], s[6:7]
	global_store_b128 v0, v[0:3], s[4:5]
	s_wait_kmcnt 0x0
	s_cmp_lg_u32 s11, 0
	s_cbranch_scc0 .LBB27_9
.LBB27_8:
	s_endpgm
.LBB27_9:
	s_load_b32 s0, s[0:1], 0x38
	s_wait_kmcnt 0x0
	s_add_co_i32 s0, s10, s0
	s_delay_alu instid0(SALU_CYCLE_1) | instskip(NEXT) | instid1(SALU_CYCLE_1)
	s_add_co_i32 s0, s0, 1
	v_mov_b32_e32 v1, s0
	global_store_b32 v0, v1, s[2:3]
	s_endpgm
	.section	.rodata,"a",@progbits
	.p2align	6, 0x0
	.amdhsa_kernel _ZN9rocsolver6v33100L28getf2_npvt_check_singularityI19rocblas_complex_numIdEiiPKPS3_EEvT0_T2_lS7_S7_lPT_PT1_S7_
		.amdhsa_group_segment_fixed_size 0
		.amdhsa_private_segment_fixed_size 0
		.amdhsa_kernarg_size 60
		.amdhsa_user_sgpr_count 2
		.amdhsa_user_sgpr_dispatch_ptr 0
		.amdhsa_user_sgpr_queue_ptr 0
		.amdhsa_user_sgpr_kernarg_segment_ptr 1
		.amdhsa_user_sgpr_dispatch_id 0
		.amdhsa_user_sgpr_kernarg_preload_length 0
		.amdhsa_user_sgpr_kernarg_preload_offset 0
		.amdhsa_user_sgpr_private_segment_size 0
		.amdhsa_wavefront_size32 1
		.amdhsa_uses_dynamic_stack 0
		.amdhsa_enable_private_segment 0
		.amdhsa_system_sgpr_workgroup_id_x 1
		.amdhsa_system_sgpr_workgroup_id_y 1
		.amdhsa_system_sgpr_workgroup_id_z 0
		.amdhsa_system_sgpr_workgroup_info 0
		.amdhsa_system_vgpr_workitem_id 0
		.amdhsa_next_free_vgpr 12
		.amdhsa_next_free_sgpr 18
		.amdhsa_named_barrier_count 0
		.amdhsa_reserve_vcc 1
		.amdhsa_float_round_mode_32 0
		.amdhsa_float_round_mode_16_64 0
		.amdhsa_float_denorm_mode_32 3
		.amdhsa_float_denorm_mode_16_64 3
		.amdhsa_fp16_overflow 0
		.amdhsa_memory_ordered 1
		.amdhsa_forward_progress 1
		.amdhsa_inst_pref_size 7
		.amdhsa_round_robin_scheduling 0
		.amdhsa_exception_fp_ieee_invalid_op 0
		.amdhsa_exception_fp_denorm_src 0
		.amdhsa_exception_fp_ieee_div_zero 0
		.amdhsa_exception_fp_ieee_overflow 0
		.amdhsa_exception_fp_ieee_underflow 0
		.amdhsa_exception_fp_ieee_inexact 0
		.amdhsa_exception_int_div_zero 0
	.end_amdhsa_kernel
	.section	.text._ZN9rocsolver6v33100L28getf2_npvt_check_singularityI19rocblas_complex_numIdEiiPKPS3_EEvT0_T2_lS7_S7_lPT_PT1_S7_,"axG",@progbits,_ZN9rocsolver6v33100L28getf2_npvt_check_singularityI19rocblas_complex_numIdEiiPKPS3_EEvT0_T2_lS7_S7_lPT_PT1_S7_,comdat
.Lfunc_end27:
	.size	_ZN9rocsolver6v33100L28getf2_npvt_check_singularityI19rocblas_complex_numIdEiiPKPS3_EEvT0_T2_lS7_S7_lPT_PT1_S7_, .Lfunc_end27-_ZN9rocsolver6v33100L28getf2_npvt_check_singularityI19rocblas_complex_numIdEiiPKPS3_EEvT0_T2_lS7_S7_lPT_PT1_S7_
                                        ; -- End function
	.set _ZN9rocsolver6v33100L28getf2_npvt_check_singularityI19rocblas_complex_numIdEiiPKPS3_EEvT0_T2_lS7_S7_lPT_PT1_S7_.num_vgpr, 12
	.set _ZN9rocsolver6v33100L28getf2_npvt_check_singularityI19rocblas_complex_numIdEiiPKPS3_EEvT0_T2_lS7_S7_lPT_PT1_S7_.num_agpr, 0
	.set _ZN9rocsolver6v33100L28getf2_npvt_check_singularityI19rocblas_complex_numIdEiiPKPS3_EEvT0_T2_lS7_S7_lPT_PT1_S7_.numbered_sgpr, 18
	.set _ZN9rocsolver6v33100L28getf2_npvt_check_singularityI19rocblas_complex_numIdEiiPKPS3_EEvT0_T2_lS7_S7_lPT_PT1_S7_.num_named_barrier, 0
	.set _ZN9rocsolver6v33100L28getf2_npvt_check_singularityI19rocblas_complex_numIdEiiPKPS3_EEvT0_T2_lS7_S7_lPT_PT1_S7_.private_seg_size, 0
	.set _ZN9rocsolver6v33100L28getf2_npvt_check_singularityI19rocblas_complex_numIdEiiPKPS3_EEvT0_T2_lS7_S7_lPT_PT1_S7_.uses_vcc, 1
	.set _ZN9rocsolver6v33100L28getf2_npvt_check_singularityI19rocblas_complex_numIdEiiPKPS3_EEvT0_T2_lS7_S7_lPT_PT1_S7_.uses_flat_scratch, 0
	.set _ZN9rocsolver6v33100L28getf2_npvt_check_singularityI19rocblas_complex_numIdEiiPKPS3_EEvT0_T2_lS7_S7_lPT_PT1_S7_.has_dyn_sized_stack, 0
	.set _ZN9rocsolver6v33100L28getf2_npvt_check_singularityI19rocblas_complex_numIdEiiPKPS3_EEvT0_T2_lS7_S7_lPT_PT1_S7_.has_recursion, 0
	.set _ZN9rocsolver6v33100L28getf2_npvt_check_singularityI19rocblas_complex_numIdEiiPKPS3_EEvT0_T2_lS7_S7_lPT_PT1_S7_.has_indirect_call, 0
	.section	.AMDGPU.csdata,"",@progbits
; Kernel info:
; codeLenInByte = 796
; TotalNumSgprs: 20
; NumVgprs: 12
; ScratchSize: 0
; MemoryBound: 0
; FloatMode: 240
; IeeeMode: 1
; LDSByteSize: 0 bytes/workgroup (compile time only)
; SGPRBlocks: 0
; VGPRBlocks: 0
; NumSGPRsForWavesPerEU: 20
; NumVGPRsForWavesPerEU: 12
; NamedBarCnt: 0
; Occupancy: 16
; WaveLimiterHint : 1
; COMPUTE_PGM_RSRC2:SCRATCH_EN: 0
; COMPUTE_PGM_RSRC2:USER_SGPR: 2
; COMPUTE_PGM_RSRC2:TRAP_HANDLER: 0
; COMPUTE_PGM_RSRC2:TGID_X_EN: 1
; COMPUTE_PGM_RSRC2:TGID_Y_EN: 1
; COMPUTE_PGM_RSRC2:TGID_Z_EN: 0
; COMPUTE_PGM_RSRC2:TIDIG_COMP_CNT: 0
	.section	.text._ZN9rocsolver6v33100L19getrf_row_permutateI19rocblas_complex_numIdEiPKPS3_EEvT0_S7_S7_T1_lS7_S7_lPS7_l,"axG",@progbits,_ZN9rocsolver6v33100L19getrf_row_permutateI19rocblas_complex_numIdEiPKPS3_EEvT0_S7_S7_T1_lS7_S7_lPS7_l,comdat
	.globl	_ZN9rocsolver6v33100L19getrf_row_permutateI19rocblas_complex_numIdEiPKPS3_EEvT0_S7_S7_T1_lS7_S7_lPS7_l ; -- Begin function _ZN9rocsolver6v33100L19getrf_row_permutateI19rocblas_complex_numIdEiPKPS3_EEvT0_S7_S7_T1_lS7_S7_lPS7_l
	.p2align	8
	.type	_ZN9rocsolver6v33100L19getrf_row_permutateI19rocblas_complex_numIdEiPKPS3_EEvT0_S7_S7_T1_lS7_S7_lPS7_l,@function
_ZN9rocsolver6v33100L19getrf_row_permutateI19rocblas_complex_numIdEiPKPS3_EEvT0_S7_S7_T1_lS7_S7_lPS7_l: ; @_ZN9rocsolver6v33100L19getrf_row_permutateI19rocblas_complex_numIdEiPKPS3_EEvT0_S7_S7_T1_lS7_S7_lPS7_l
; %bb.0:
	s_clause 0x1
	s_load_u16 s3, s[0:1], 0x4e
	s_load_b96 s[4:6], s[0:1], 0x0
	s_bfe_u32 s2, ttmp6, 0x40010
	s_and_b32 s7, ttmp7, 0xffff
	s_add_co_i32 s9, s2, 1
	s_bfe_u32 s8, ttmp6, 0x40004
	s_mul_i32 s9, s7, s9
	s_getreg_b32 s2, hwreg(HW_REG_IB_STS2, 6, 4)
	v_bfe_u32 v1, v0, 10, 10
	s_add_co_i32 s8, s8, s9
	s_cmp_eq_u32 s2, 0
	s_cselect_b32 s7, s7, s8
	s_wait_kmcnt 0x0
	v_mad_u32 v2, s7, s3, v1
	s_mov_b32 s3, 0
	s_delay_alu instid0(VALU_DEP_1) | instskip(SKIP_1) | instid1(VALU_DEP_1)
	v_cmp_le_i32_e32 vcc_lo, s5, v2
	v_cndmask_b32_e64 v3, 0, s6, vcc_lo
	v_add_nc_u32_e32 v2, v3, v2
	s_delay_alu instid0(VALU_DEP_1)
	v_cmp_gt_i32_e32 vcc_lo, s4, v2
	s_and_saveexec_b32 s4, vcc_lo
	s_cbranch_execz .LBB28_2
; %bb.1:
	s_add_nc_u64 s[8:9], s[0:1], 64
	s_bfe_u32 s11, ttmp6, 0x40008
	s_load_b32 s10, s[8:9], 0xc
	s_load_b128 s[4:7], s[0:1], 0x30
	s_wait_xcnt 0x0
	s_bfe_u32 s8, ttmp6, 0x40014
	s_lshr_b32 s9, ttmp7, 16
	s_add_co_i32 s8, s8, 1
	v_and_b32_e32 v6, 0x3ff, v0
	s_mul_i32 s8, s9, s8
	s_delay_alu instid0(SALU_CYCLE_1)
	s_add_co_i32 s11, s11, s8
	s_wait_kmcnt 0x0
	s_and_b32 s12, s10, 0xffff
	s_cmp_eq_u32 s2, 0
	v_mul_u32_u24_e32 v1, s12, v1
	s_cselect_b32 s2, s9, s11
	v_lshlrev_b32_e32 v9, 4, v6
	s_mul_u64 s[6:7], s[6:7], s[2:3]
	s_delay_alu instid0(SALU_CYCLE_1)
	s_lshl_b64 s[6:7], s[6:7], 2
	v_lshlrev_b32_e32 v1, 4, v1
	s_add_nc_u64 s[8:9], s[4:5], s[6:7]
	global_load_b32 v0, v6, s[8:9] scale_offset
	s_clause 0x1
	s_load_b64 s[10:11], s[0:1], 0x20
	s_load_b128 s[4:7], s[0:1], 0x10
	v_add3_u32 v9, 0, v9, v1
	s_wait_kmcnt 0x0
	v_mul_lo_u32 v7, v2, s11
	s_load_b64 s[0:1], s[4:5], s2 offset:0x0 scale_offset
	s_wait_xcnt 0x0
	s_lshl_b64 s[2:3], s[6:7], 4
	s_wait_kmcnt 0x0
	s_add_nc_u64 s[0:1], s[0:1], s[2:3]
	s_wait_loadcnt 0x0
	s_delay_alu instid0(VALU_DEP_1)
	v_mad_u32 v8, v0, s10, v7
	global_load_b32 v0, v0, s[8:9] scale_offset
	flat_load_b128 v[2:5], v8, s[0:1] scale_offset
	s_wait_loadcnt 0x1
	s_wait_xcnt 0x1
	v_mad_u32 v0, v0, s10, v7
	s_wait_loadcnt_dscnt 0x0
	ds_store_2addr_b64 v9, v[2:3], v[4:5] offset1:1
	flat_load_b128 v[0:3], v0, s[0:1] scale_offset
	v_mad_u32 v4, s10, v6, v7
	s_wait_loadcnt_dscnt 0x0
	flat_store_b128 v8, v[0:3], s[0:1] scale_offset
	s_wait_storecnt_dscnt 0x0
	s_barrier_signal -1
	s_barrier_wait -1
	s_wait_xcnt 0x0
	ds_load_2addr_b64 v[0:3], v9 offset1:1
	s_wait_dscnt 0x0
	flat_store_b128 v4, v[0:3], s[0:1] scale_offset
.LBB28_2:
	s_endpgm
	.section	.rodata,"a",@progbits
	.p2align	6, 0x0
	.amdhsa_kernel _ZN9rocsolver6v33100L19getrf_row_permutateI19rocblas_complex_numIdEiPKPS3_EEvT0_S7_S7_T1_lS7_S7_lPS7_l
		.amdhsa_group_segment_fixed_size 0
		.amdhsa_private_segment_fixed_size 0
		.amdhsa_kernarg_size 320
		.amdhsa_user_sgpr_count 2
		.amdhsa_user_sgpr_dispatch_ptr 0
		.amdhsa_user_sgpr_queue_ptr 0
		.amdhsa_user_sgpr_kernarg_segment_ptr 1
		.amdhsa_user_sgpr_dispatch_id 0
		.amdhsa_user_sgpr_kernarg_preload_length 0
		.amdhsa_user_sgpr_kernarg_preload_offset 0
		.amdhsa_user_sgpr_private_segment_size 0
		.amdhsa_wavefront_size32 1
		.amdhsa_uses_dynamic_stack 0
		.amdhsa_enable_private_segment 0
		.amdhsa_system_sgpr_workgroup_id_x 1
		.amdhsa_system_sgpr_workgroup_id_y 1
		.amdhsa_system_sgpr_workgroup_id_z 1
		.amdhsa_system_sgpr_workgroup_info 0
		.amdhsa_system_vgpr_workitem_id 1
		.amdhsa_next_free_vgpr 10
		.amdhsa_next_free_sgpr 13
		.amdhsa_named_barrier_count 0
		.amdhsa_reserve_vcc 1
		.amdhsa_float_round_mode_32 0
		.amdhsa_float_round_mode_16_64 0
		.amdhsa_float_denorm_mode_32 3
		.amdhsa_float_denorm_mode_16_64 3
		.amdhsa_fp16_overflow 0
		.amdhsa_memory_ordered 1
		.amdhsa_forward_progress 1
		.amdhsa_inst_pref_size 4
		.amdhsa_round_robin_scheduling 0
		.amdhsa_exception_fp_ieee_invalid_op 0
		.amdhsa_exception_fp_denorm_src 0
		.amdhsa_exception_fp_ieee_div_zero 0
		.amdhsa_exception_fp_ieee_overflow 0
		.amdhsa_exception_fp_ieee_underflow 0
		.amdhsa_exception_fp_ieee_inexact 0
		.amdhsa_exception_int_div_zero 0
	.end_amdhsa_kernel
	.section	.text._ZN9rocsolver6v33100L19getrf_row_permutateI19rocblas_complex_numIdEiPKPS3_EEvT0_S7_S7_T1_lS7_S7_lPS7_l,"axG",@progbits,_ZN9rocsolver6v33100L19getrf_row_permutateI19rocblas_complex_numIdEiPKPS3_EEvT0_S7_S7_T1_lS7_S7_lPS7_l,comdat
.Lfunc_end28:
	.size	_ZN9rocsolver6v33100L19getrf_row_permutateI19rocblas_complex_numIdEiPKPS3_EEvT0_S7_S7_T1_lS7_S7_lPS7_l, .Lfunc_end28-_ZN9rocsolver6v33100L19getrf_row_permutateI19rocblas_complex_numIdEiPKPS3_EEvT0_S7_S7_T1_lS7_S7_lPS7_l
                                        ; -- End function
	.set _ZN9rocsolver6v33100L19getrf_row_permutateI19rocblas_complex_numIdEiPKPS3_EEvT0_S7_S7_T1_lS7_S7_lPS7_l.num_vgpr, 10
	.set _ZN9rocsolver6v33100L19getrf_row_permutateI19rocblas_complex_numIdEiPKPS3_EEvT0_S7_S7_T1_lS7_S7_lPS7_l.num_agpr, 0
	.set _ZN9rocsolver6v33100L19getrf_row_permutateI19rocblas_complex_numIdEiPKPS3_EEvT0_S7_S7_T1_lS7_S7_lPS7_l.numbered_sgpr, 13
	.set _ZN9rocsolver6v33100L19getrf_row_permutateI19rocblas_complex_numIdEiPKPS3_EEvT0_S7_S7_T1_lS7_S7_lPS7_l.num_named_barrier, 0
	.set _ZN9rocsolver6v33100L19getrf_row_permutateI19rocblas_complex_numIdEiPKPS3_EEvT0_S7_S7_T1_lS7_S7_lPS7_l.private_seg_size, 0
	.set _ZN9rocsolver6v33100L19getrf_row_permutateI19rocblas_complex_numIdEiPKPS3_EEvT0_S7_S7_T1_lS7_S7_lPS7_l.uses_vcc, 1
	.set _ZN9rocsolver6v33100L19getrf_row_permutateI19rocblas_complex_numIdEiPKPS3_EEvT0_S7_S7_T1_lS7_S7_lPS7_l.uses_flat_scratch, 0
	.set _ZN9rocsolver6v33100L19getrf_row_permutateI19rocblas_complex_numIdEiPKPS3_EEvT0_S7_S7_T1_lS7_S7_lPS7_l.has_dyn_sized_stack, 0
	.set _ZN9rocsolver6v33100L19getrf_row_permutateI19rocblas_complex_numIdEiPKPS3_EEvT0_S7_S7_T1_lS7_S7_lPS7_l.has_recursion, 0
	.set _ZN9rocsolver6v33100L19getrf_row_permutateI19rocblas_complex_numIdEiPKPS3_EEvT0_S7_S7_T1_lS7_S7_lPS7_l.has_indirect_call, 0
	.section	.AMDGPU.csdata,"",@progbits
; Kernel info:
; codeLenInByte = 468
; TotalNumSgprs: 15
; NumVgprs: 10
; ScratchSize: 0
; MemoryBound: 0
; FloatMode: 240
; IeeeMode: 1
; LDSByteSize: 0 bytes/workgroup (compile time only)
; SGPRBlocks: 0
; VGPRBlocks: 0
; NumSGPRsForWavesPerEU: 15
; NumVGPRsForWavesPerEU: 10
; NamedBarCnt: 0
; Occupancy: 16
; WaveLimiterHint : 1
; COMPUTE_PGM_RSRC2:SCRATCH_EN: 0
; COMPUTE_PGM_RSRC2:USER_SGPR: 2
; COMPUTE_PGM_RSRC2:TRAP_HANDLER: 0
; COMPUTE_PGM_RSRC2:TGID_X_EN: 1
; COMPUTE_PGM_RSRC2:TGID_Y_EN: 1
; COMPUTE_PGM_RSRC2:TGID_Z_EN: 1
; COMPUTE_PGM_RSRC2:TIDIG_COMP_CNT: 1
	.section	.text._ZN9rocsolver6v33100L12laswp_kernelI19rocblas_complex_numIdEiPKPS3_EEvT0_T1_lS7_S7_lS7_S7_PKS7_lS7_l,"axG",@progbits,_ZN9rocsolver6v33100L12laswp_kernelI19rocblas_complex_numIdEiPKPS3_EEvT0_T1_lS7_S7_lS7_S7_PKS7_lS7_l,comdat
	.globl	_ZN9rocsolver6v33100L12laswp_kernelI19rocblas_complex_numIdEiPKPS3_EEvT0_T1_lS7_S7_lS7_S7_PKS7_lS7_l ; -- Begin function _ZN9rocsolver6v33100L12laswp_kernelI19rocblas_complex_numIdEiPKPS3_EEvT0_T1_lS7_S7_lS7_S7_PKS7_lS7_l
	.p2align	8
	.type	_ZN9rocsolver6v33100L12laswp_kernelI19rocblas_complex_numIdEiPKPS3_EEvT0_T1_lS7_S7_lS7_S7_PKS7_lS7_l,@function
_ZN9rocsolver6v33100L12laswp_kernelI19rocblas_complex_numIdEiPKPS3_EEvT0_T1_lS7_S7_lS7_S7_PKS7_lS7_l: ; @_ZN9rocsolver6v33100L12laswp_kernelI19rocblas_complex_numIdEiPKPS3_EEvT0_T1_lS7_S7_lS7_S7_PKS7_lS7_l
; %bb.0:
	s_clause 0x1
	s_load_b32 s5, s[2:3], 0x5c
	s_load_b32 s6, s[2:3], 0x0
	s_bfe_u32 s4, ttmp6, 0x4000c
	s_and_b32 s7, ttmp6, 15
	s_add_co_i32 s8, s4, 1
	s_getreg_b32 s4, hwreg(HW_REG_IB_STS2, 6, 4)
	s_mul_i32 s8, ttmp9, s8
	v_and_b32_e32 v1, 0x3ff, v0
	s_add_co_i32 s7, s7, s8
	s_wait_kmcnt 0x0
	s_and_b32 s5, s5, 0xffff
	s_cmp_eq_u32 s4, 0
	s_cselect_b32 s7, ttmp9, s7
	s_delay_alu instid0(SALU_CYCLE_1) | instskip(SKIP_1) | instid1(VALU_DEP_1)
	v_mad_u32 v2, s7, s5, v1
	s_mov_b32 s5, exec_lo
	v_cmpx_gt_i32_e64 s6, v2
	s_cbranch_execz .LBB29_10
; %bb.1:
	s_clause 0x1
	s_load_b32 s16, s[2:3], 0x40
	s_load_b64 s[8:9], s[2:3], 0x28
	s_bfe_u32 s5, ttmp6, 0x40010
	s_bfe_u32 s6, ttmp6, 0x40004
	s_add_co_i32 s5, s5, 1
	s_delay_alu instid0(SALU_CYCLE_1) | instskip(NEXT) | instid1(SALU_CYCLE_1)
	s_mul_i32 s5, ttmp7, s5
	s_add_co_i32 s6, s6, s5
	s_cmp_eq_u32 s4, 0
	s_cselect_b32 s10, ttmp7, s6
	s_wait_kmcnt 0x0
	s_cmp_gt_i32 s16, -1
	s_cbranch_scc0 .LBB29_3
; %bb.2:
	s_add_co_i32 s14, s9, 1
	s_mov_b32 s15, 1
	s_mov_b32 s17, s8
	s_cbranch_execz .LBB29_4
	s_branch .LBB29_5
.LBB29_3:
                                        ; implicit-def: $sgpr14
	s_mov_b32 s15, 1
	s_mov_b32 s17, s8
.LBB29_4:
	s_mov_b32 s15, -1
	s_add_co_i32 s14, s8, -1
	s_sub_co_i32 s16, 0, s16
	s_mov_b32 s17, s9
.LBB29_5:
	s_delay_alu instid0(SALU_CYCLE_1)
	s_cmp_eq_u32 s17, s14
	s_cbranch_scc1 .LBB29_10
; %bb.6:
	s_clause 0x1
	s_load_b128 s[4:7], s[2:3], 0x8
	s_load_b64 s[12:13], s[2:3], 0x18
	s_load_b64 s[18:19], s[0:1], 0x4
	s_clause 0x1
	s_load_b64 s[24:25], s[2:3], 0x48
	s_load_b128 s[20:23], s[2:3], 0x30
	s_ashr_i32 s11, s10, 31
	v_bfe_u32 v3, v0, 10, 10
	s_wait_xcnt 0x0
	s_lshl_b64 s[0:1], s[10:11], 3
	v_bfe_u32 v4, v0, 20, 10
	s_wait_kmcnt 0x0
	s_add_nc_u64 s[0:1], s[4:5], s[0:1]
	v_mul_lo_u32 v2, v2, s13
	s_load_b64 s[2:3], s[0:1], 0x0
	v_mul_u32_u24_e32 v3, s19, v3
	s_wait_xcnt 0x0
	s_lshr_b32 s0, s18, 16
	s_add_co_i32 s5, s17, -1
	s_mul_i32 s0, s0, s19
	s_sub_co_i32 s1, s17, s8
	v_mad_u32 v1, s0, v1, v3
	s_mul_i32 s0, s16, s1
	s_lshl_b64 s[6:7], s[6:7], 4
	s_add_co_i32 s4, s8, s0
	v_mad_u32 v0, s12, s5, v2
	s_mul_u64 s[0:1], s[24:25], s[10:11]
	s_lshl_b64 s[8:9], s[22:23], 2
	s_lshl_b64 s[0:1], s[0:1], 2
	s_mul_i32 s5, s15, s12
	s_add_nc_u64 s[0:1], s[20:21], s[0:1]
	s_delay_alu instid0(VALU_DEP_2)
	v_add_lshl_u32 v1, v1, v4, 4
	s_add_nc_u64 s[0:1], s[0:1], s[8:9]
	s_wait_kmcnt 0x0
	s_add_nc_u64 s[2:3], s[2:3], s[6:7]
	s_mul_i32 s6, s16, s15
	s_branch .LBB29_8
.LBB29_7:                               ;   in Loop: Header=BB29_8 Depth=1
	v_add_nc_u32_e32 v0, s5, v0
	s_add_co_i32 s17, s17, s15
	s_add_co_i32 s4, s4, s6
	s_cmp_lg_u32 s14, s17
	s_cbranch_scc0 .LBB29_10
.LBB29_8:                               ; =>This Inner Loop Header: Depth=1
	s_wait_xcnt 0x0
	v_mov_b32_e32 v3, s4
	global_load_b32 v3, v3, s[0:1] offset:-4 scale_offset
	s_wait_loadcnt 0x0
	v_cmp_eq_u32_e32 vcc_lo, s17, v3
	s_cbranch_vccnz .LBB29_7
; %bb.9:                                ;   in Loop: Header=BB29_8 Depth=1
	flat_load_b128 v[4:7], v0, s[2:3] scale_offset
	s_wait_xcnt 0x1
	v_add_nc_u32_e32 v3, -1, v3
	s_delay_alu instid0(VALU_DEP_1)
	v_mad_u32 v3, v3, s12, v2
	s_wait_loadcnt_dscnt 0x0
	ds_store_2addr_b64 v1, v[4:5], v[6:7] offset1:1
	flat_load_b128 v[4:7], v3, s[2:3] scale_offset
	s_wait_loadcnt_dscnt 0x0
	flat_store_b128 v0, v[4:7], s[2:3] scale_offset
	s_wait_xcnt 0x0
	ds_load_2addr_b64 v[4:7], v1 offset1:1
	s_wait_dscnt 0x0
	flat_store_b128 v3, v[4:7], s[2:3] scale_offset
	s_branch .LBB29_7
.LBB29_10:
	s_endpgm
	.section	.rodata,"a",@progbits
	.p2align	6, 0x0
	.amdhsa_kernel _ZN9rocsolver6v33100L12laswp_kernelI19rocblas_complex_numIdEiPKPS3_EEvT0_T1_lS7_S7_lS7_S7_PKS7_lS7_l
		.amdhsa_group_segment_fixed_size 16384
		.amdhsa_private_segment_fixed_size 0
		.amdhsa_kernarg_size 336
		.amdhsa_user_sgpr_count 4
		.amdhsa_user_sgpr_dispatch_ptr 1
		.amdhsa_user_sgpr_queue_ptr 0
		.amdhsa_user_sgpr_kernarg_segment_ptr 1
		.amdhsa_user_sgpr_dispatch_id 0
		.amdhsa_user_sgpr_kernarg_preload_length 0
		.amdhsa_user_sgpr_kernarg_preload_offset 0
		.amdhsa_user_sgpr_private_segment_size 0
		.amdhsa_wavefront_size32 1
		.amdhsa_uses_dynamic_stack 0
		.amdhsa_enable_private_segment 0
		.amdhsa_system_sgpr_workgroup_id_x 1
		.amdhsa_system_sgpr_workgroup_id_y 1
		.amdhsa_system_sgpr_workgroup_id_z 0
		.amdhsa_system_sgpr_workgroup_info 0
		.amdhsa_system_vgpr_workitem_id 2
		.amdhsa_next_free_vgpr 8
		.amdhsa_next_free_sgpr 26
		.amdhsa_named_barrier_count 0
		.amdhsa_reserve_vcc 1
		.amdhsa_float_round_mode_32 0
		.amdhsa_float_round_mode_16_64 0
		.amdhsa_float_denorm_mode_32 3
		.amdhsa_float_denorm_mode_16_64 3
		.amdhsa_fp16_overflow 0
		.amdhsa_memory_ordered 1
		.amdhsa_forward_progress 1
		.amdhsa_inst_pref_size 5
		.amdhsa_round_robin_scheduling 0
		.amdhsa_exception_fp_ieee_invalid_op 0
		.amdhsa_exception_fp_denorm_src 0
		.amdhsa_exception_fp_ieee_div_zero 0
		.amdhsa_exception_fp_ieee_overflow 0
		.amdhsa_exception_fp_ieee_underflow 0
		.amdhsa_exception_fp_ieee_inexact 0
		.amdhsa_exception_int_div_zero 0
	.end_amdhsa_kernel
	.section	.text._ZN9rocsolver6v33100L12laswp_kernelI19rocblas_complex_numIdEiPKPS3_EEvT0_T1_lS7_S7_lS7_S7_PKS7_lS7_l,"axG",@progbits,_ZN9rocsolver6v33100L12laswp_kernelI19rocblas_complex_numIdEiPKPS3_EEvT0_T1_lS7_S7_lS7_S7_PKS7_lS7_l,comdat
.Lfunc_end29:
	.size	_ZN9rocsolver6v33100L12laswp_kernelI19rocblas_complex_numIdEiPKPS3_EEvT0_T1_lS7_S7_lS7_S7_PKS7_lS7_l, .Lfunc_end29-_ZN9rocsolver6v33100L12laswp_kernelI19rocblas_complex_numIdEiPKPS3_EEvT0_T1_lS7_S7_lS7_S7_PKS7_lS7_l
                                        ; -- End function
	.set _ZN9rocsolver6v33100L12laswp_kernelI19rocblas_complex_numIdEiPKPS3_EEvT0_T1_lS7_S7_lS7_S7_PKS7_lS7_l.num_vgpr, 8
	.set _ZN9rocsolver6v33100L12laswp_kernelI19rocblas_complex_numIdEiPKPS3_EEvT0_T1_lS7_S7_lS7_S7_PKS7_lS7_l.num_agpr, 0
	.set _ZN9rocsolver6v33100L12laswp_kernelI19rocblas_complex_numIdEiPKPS3_EEvT0_T1_lS7_S7_lS7_S7_PKS7_lS7_l.numbered_sgpr, 26
	.set _ZN9rocsolver6v33100L12laswp_kernelI19rocblas_complex_numIdEiPKPS3_EEvT0_T1_lS7_S7_lS7_S7_PKS7_lS7_l.num_named_barrier, 0
	.set _ZN9rocsolver6v33100L12laswp_kernelI19rocblas_complex_numIdEiPKPS3_EEvT0_T1_lS7_S7_lS7_S7_PKS7_lS7_l.private_seg_size, 0
	.set _ZN9rocsolver6v33100L12laswp_kernelI19rocblas_complex_numIdEiPKPS3_EEvT0_T1_lS7_S7_lS7_S7_PKS7_lS7_l.uses_vcc, 1
	.set _ZN9rocsolver6v33100L12laswp_kernelI19rocblas_complex_numIdEiPKPS3_EEvT0_T1_lS7_S7_lS7_S7_PKS7_lS7_l.uses_flat_scratch, 0
	.set _ZN9rocsolver6v33100L12laswp_kernelI19rocblas_complex_numIdEiPKPS3_EEvT0_T1_lS7_S7_lS7_S7_PKS7_lS7_l.has_dyn_sized_stack, 0
	.set _ZN9rocsolver6v33100L12laswp_kernelI19rocblas_complex_numIdEiPKPS3_EEvT0_T1_lS7_S7_lS7_S7_PKS7_lS7_l.has_recursion, 0
	.set _ZN9rocsolver6v33100L12laswp_kernelI19rocblas_complex_numIdEiPKPS3_EEvT0_T1_lS7_S7_lS7_S7_PKS7_lS7_l.has_indirect_call, 0
	.section	.AMDGPU.csdata,"",@progbits
; Kernel info:
; codeLenInByte = 596
; TotalNumSgprs: 28
; NumVgprs: 8
; ScratchSize: 0
; MemoryBound: 0
; FloatMode: 240
; IeeeMode: 1
; LDSByteSize: 16384 bytes/workgroup (compile time only)
; SGPRBlocks: 0
; VGPRBlocks: 0
; NumSGPRsForWavesPerEU: 28
; NumVGPRsForWavesPerEU: 8
; NamedBarCnt: 0
; Occupancy: 16
; WaveLimiterHint : 1
; COMPUTE_PGM_RSRC2:SCRATCH_EN: 0
; COMPUTE_PGM_RSRC2:USER_SGPR: 4
; COMPUTE_PGM_RSRC2:TRAP_HANDLER: 0
; COMPUTE_PGM_RSRC2:TGID_X_EN: 1
; COMPUTE_PGM_RSRC2:TGID_Y_EN: 1
; COMPUTE_PGM_RSRC2:TGID_Z_EN: 0
; COMPUTE_PGM_RSRC2:TIDIG_COMP_CNT: 2
	.section	.AMDGPU.gpr_maximums,"",@progbits
	.set amdgpu.max_num_vgpr, 0
	.set amdgpu.max_num_agpr, 0
	.set amdgpu.max_num_sgpr, 0
	.section	.AMDGPU.csdata,"",@progbits
	.type	__hip_cuid_df727c68e0ac5ba7,@object ; @__hip_cuid_df727c68e0ac5ba7
	.section	.bss,"aw",@nobits
	.globl	__hip_cuid_df727c68e0ac5ba7
__hip_cuid_df727c68e0ac5ba7:
	.byte	0                               ; 0x0
	.size	__hip_cuid_df727c68e0ac5ba7, 1

	.ident	"AMD clang version 22.0.0git (https://github.com/RadeonOpenCompute/llvm-project roc-7.2.4 26084 f58b06dce1f9c15707c5f808fd002e18c2accf7e)"
	.section	".note.GNU-stack","",@progbits
	.addrsig
	.addrsig_sym __hip_cuid_df727c68e0ac5ba7
	.amdgpu_metadata
---
amdhsa.kernels:
  - .args:
      - .address_space:  global
        .offset:         0
        .size:           8
        .value_kind:     global_buffer
      - .offset:         8
        .size:           4
        .value_kind:     by_value
      - .offset:         12
        .size:           4
        .value_kind:     by_value
    .group_segment_fixed_size: 0
    .kernarg_segment_align: 8
    .kernarg_segment_size: 16
    .language:       OpenCL C
    .language_version:
      - 2
      - 0
    .max_flat_workgroup_size: 32
    .name:           _ZN9rocsolver6v33100L6iota_nIfEEvPT_jS2_
    .private_segment_fixed_size: 0
    .sgpr_count:     6
    .sgpr_spill_count: 0
    .symbol:         _ZN9rocsolver6v33100L6iota_nIfEEvPT_jS2_.kd
    .uniform_work_group_size: 1
    .uses_dynamic_stack: false
    .vgpr_count:     2
    .vgpr_spill_count: 0
    .wavefront_size: 32
  - .args:
      - .address_space:  global
        .offset:         0
        .size:           8
        .value_kind:     global_buffer
      - .offset:         8
        .size:           4
        .value_kind:     by_value
      - .offset:         12
        .size:           4
        .value_kind:     by_value
      - .offset:         16
        .size:           4
        .value_kind:     by_value
      - .offset:         24
        .size:           4
        .value_kind:     hidden_block_count_x
      - .offset:         28
        .size:           4
        .value_kind:     hidden_block_count_y
      - .offset:         32
        .size:           4
        .value_kind:     hidden_block_count_z
      - .offset:         36
        .size:           2
        .value_kind:     hidden_group_size_x
      - .offset:         38
        .size:           2
        .value_kind:     hidden_group_size_y
      - .offset:         40
        .size:           2
        .value_kind:     hidden_group_size_z
      - .offset:         42
        .size:           2
        .value_kind:     hidden_remainder_x
      - .offset:         44
        .size:           2
        .value_kind:     hidden_remainder_y
      - .offset:         46
        .size:           2
        .value_kind:     hidden_remainder_z
      - .offset:         64
        .size:           8
        .value_kind:     hidden_global_offset_x
      - .offset:         72
        .size:           8
        .value_kind:     hidden_global_offset_y
      - .offset:         80
        .size:           8
        .value_kind:     hidden_global_offset_z
      - .offset:         88
        .size:           2
        .value_kind:     hidden_grid_dims
    .group_segment_fixed_size: 0
    .kernarg_segment_align: 8
    .kernarg_segment_size: 280
    .language:       OpenCL C
    .language_version:
      - 2
      - 0
    .max_flat_workgroup_size: 1024
    .name:           _ZN9rocsolver6v33100L10reset_infoIiiiEEvPT_T0_T1_S4_
    .private_segment_fixed_size: 0
    .sgpr_count:     9
    .sgpr_spill_count: 0
    .symbol:         _ZN9rocsolver6v33100L10reset_infoIiiiEEvPT_T0_T1_S4_.kd
    .uniform_work_group_size: 1
    .uses_dynamic_stack: false
    .vgpr_count:     2
    .vgpr_spill_count: 0
    .wavefront_size: 32
  - .args:
      - .offset:         0
        .size:           4
        .value_kind:     by_value
      - .address_space:  global
        .offset:         8
        .size:           8
        .value_kind:     global_buffer
      - .offset:         16
        .size:           8
        .value_kind:     by_value
      - .offset:         24
        .size:           4
        .value_kind:     hidden_block_count_x
      - .offset:         28
        .size:           4
        .value_kind:     hidden_block_count_y
      - .offset:         32
        .size:           4
        .value_kind:     hidden_block_count_z
      - .offset:         36
        .size:           2
        .value_kind:     hidden_group_size_x
      - .offset:         38
        .size:           2
        .value_kind:     hidden_group_size_y
      - .offset:         40
        .size:           2
        .value_kind:     hidden_group_size_z
      - .offset:         42
        .size:           2
        .value_kind:     hidden_remainder_x
      - .offset:         44
        .size:           2
        .value_kind:     hidden_remainder_y
      - .offset:         46
        .size:           2
        .value_kind:     hidden_remainder_z
      - .offset:         64
        .size:           8
        .value_kind:     hidden_global_offset_x
      - .offset:         72
        .size:           8
        .value_kind:     hidden_global_offset_y
      - .offset:         80
        .size:           8
        .value_kind:     hidden_global_offset_z
      - .offset:         88
        .size:           2
        .value_kind:     hidden_grid_dims
    .group_segment_fixed_size: 0
    .kernarg_segment_align: 8
    .kernarg_segment_size: 280
    .language:       OpenCL C
    .language_version:
      - 2
      - 0
    .max_flat_workgroup_size: 1024
    .name:           _ZN9rocsolver6v33100L17getf2_permut_initIfiEEvT0_PS2_l
    .private_segment_fixed_size: 0
    .sgpr_count:     8
    .sgpr_spill_count: 0
    .symbol:         _ZN9rocsolver6v33100L17getf2_permut_initIfiEEvT0_PS2_l.kd
    .uniform_work_group_size: 1
    .uses_dynamic_stack: false
    .vgpr_count:     1
    .vgpr_spill_count: 0
    .wavefront_size: 32
  - .args:
      - .offset:         0
        .size:           4
        .value_kind:     by_value
      - .address_space:  global
        .offset:         8
        .size:           8
        .value_kind:     global_buffer
      - .offset:         16
        .size:           8
        .value_kind:     by_value
      - .offset:         24
        .size:           4
        .value_kind:     by_value
      - .offset:         32
        .size:           8
        .value_kind:     by_value
      - .address_space:  global
        .offset:         40
        .size:           8
        .value_kind:     global_buffer
    .group_segment_fixed_size: 8192
    .kernarg_segment_align: 8
    .kernarg_segment_size: 48
    .language:       OpenCL C
    .language_version:
      - 2
      - 0
    .max_flat_workgroup_size: 1024
    .name:           _ZN9rocsolver6v33100L11getf2_iamaxIfiPKPfEEvT0_T1_lS5_lPS5_
    .private_segment_fixed_size: 0
    .sgpr_count:     18
    .sgpr_spill_count: 0
    .symbol:         _ZN9rocsolver6v33100L11getf2_iamaxIfiPKPfEEvT0_T1_lS5_lPS5_.kd
    .uniform_work_group_size: 1
    .uses_dynamic_stack: false
    .vgpr_count:     7
    .vgpr_spill_count: 0
    .wavefront_size: 32
  - .args:
      - .offset:         0
        .size:           4
        .value_kind:     by_value
      - .offset:         4
        .size:           4
        .value_kind:     by_value
      - .address_space:  global
        .offset:         8
        .size:           8
        .value_kind:     global_buffer
      - .offset:         16
        .size:           8
        .value_kind:     by_value
      - .offset:         24
        .size:           4
        .value_kind:     by_value
      - .offset:         28
        .size:           4
        .value_kind:     by_value
      - .offset:         32
        .size:           8
        .value_kind:     by_value
      - .address_space:  global
        .offset:         40
        .size:           8
        .value_kind:     global_buffer
      - .offset:         48
        .size:           8
        .value_kind:     by_value
      - .offset:         56
        .size:           8
        .value_kind:     by_value
      - .address_space:  global
        .offset:         64
        .size:           8
        .value_kind:     global_buffer
      - .address_space:  global
        .offset:         72
        .size:           8
        .value_kind:     global_buffer
      - .address_space:  global
        .offset:         80
        .size:           8
        .value_kind:     global_buffer
      - .offset:         88
        .size:           4
        .value_kind:     by_value
      - .address_space:  global
        .offset:         96
        .size:           8
        .value_kind:     global_buffer
      - .offset:         104
        .size:           8
        .value_kind:     by_value
      - .offset:         112
        .size:           4
        .value_kind:     hidden_block_count_x
      - .offset:         116
        .size:           4
        .value_kind:     hidden_block_count_y
      - .offset:         120
        .size:           4
        .value_kind:     hidden_block_count_z
      - .offset:         124
        .size:           2
        .value_kind:     hidden_group_size_x
      - .offset:         126
        .size:           2
        .value_kind:     hidden_group_size_y
      - .offset:         128
        .size:           2
        .value_kind:     hidden_group_size_z
      - .offset:         130
        .size:           2
        .value_kind:     hidden_remainder_x
      - .offset:         132
        .size:           2
        .value_kind:     hidden_remainder_y
      - .offset:         134
        .size:           2
        .value_kind:     hidden_remainder_z
      - .offset:         152
        .size:           8
        .value_kind:     hidden_global_offset_x
      - .offset:         160
        .size:           8
        .value_kind:     hidden_global_offset_y
      - .offset:         168
        .size:           8
        .value_kind:     hidden_global_offset_z
      - .offset:         176
        .size:           2
        .value_kind:     hidden_grid_dims
    .group_segment_fixed_size: 0
    .kernarg_segment_align: 8
    .kernarg_segment_size: 368
    .language:       OpenCL C
    .language_version:
      - 2
      - 0
    .max_flat_workgroup_size: 1024
    .name:           _ZN9rocsolver6v33100L23getf2_check_singularityIfiiPKPfEEvT0_S5_T2_lS5_S5_lPS5_llPT_S7_PT1_S5_S7_l
    .private_segment_fixed_size: 0
    .sgpr_count:     31
    .sgpr_spill_count: 0
    .symbol:         _ZN9rocsolver6v33100L23getf2_check_singularityIfiiPKPfEEvT0_S5_T2_lS5_S5_lPS5_llPT_S7_PT1_S5_S7_l.kd
    .uniform_work_group_size: 1
    .uses_dynamic_stack: false
    .vgpr_count:     6
    .vgpr_spill_count: 0
    .wavefront_size: 32
  - .args:
      - .offset:         0
        .size:           4
        .value_kind:     by_value
      - .address_space:  global
        .offset:         8
        .size:           8
        .value_kind:     global_buffer
      - .offset:         16
        .size:           8
        .value_kind:     by_value
      - .offset:         24
        .size:           4
        .value_kind:     by_value
      - .offset:         28
        .size:           4
        .value_kind:     by_value
      - .offset:         32
        .size:           8
        .value_kind:     by_value
      - .address_space:  global
        .offset:         40
        .size:           8
        .value_kind:     global_buffer
      - .address_space:  global
        .offset:         48
        .size:           8
        .value_kind:     global_buffer
      - .offset:         56
        .size:           4
        .value_kind:     by_value
    .group_segment_fixed_size: 0
    .kernarg_segment_align: 8
    .kernarg_segment_size: 60
    .language:       OpenCL C
    .language_version:
      - 2
      - 0
    .max_flat_workgroup_size: 1024
    .name:           _ZN9rocsolver6v33100L28getf2_npvt_check_singularityIfiiPKPfEEvT0_T2_lS5_S5_lPT_PT1_S5_
    .private_segment_fixed_size: 0
    .sgpr_count:     20
    .sgpr_spill_count: 0
    .symbol:         _ZN9rocsolver6v33100L28getf2_npvt_check_singularityIfiiPKPfEEvT0_T2_lS5_S5_lPT_PT1_S5_.kd
    .uniform_work_group_size: 1
    .uses_dynamic_stack: false
    .vgpr_count:     6
    .vgpr_spill_count: 0
    .wavefront_size: 32
  - .args:
      - .offset:         0
        .size:           4
        .value_kind:     by_value
      - .offset:         4
        .size:           4
        .value_kind:     by_value
      - .offset:         8
        .size:           4
        .value_kind:     by_value
      - .address_space:  global
        .offset:         16
        .size:           8
        .value_kind:     global_buffer
      - .offset:         24
        .size:           8
        .value_kind:     by_value
      - .offset:         32
        .size:           4
        .value_kind:     by_value
      - .offset:         36
        .size:           4
        .value_kind:     by_value
      - .offset:         40
        .size:           8
        .value_kind:     by_value
      - .address_space:  global
        .offset:         48
        .size:           8
        .value_kind:     global_buffer
      - .offset:         56
        .size:           8
        .value_kind:     by_value
      - .offset:         64
        .size:           4
        .value_kind:     hidden_block_count_x
      - .offset:         68
        .size:           4
        .value_kind:     hidden_block_count_y
      - .offset:         72
        .size:           4
        .value_kind:     hidden_block_count_z
      - .offset:         76
        .size:           2
        .value_kind:     hidden_group_size_x
      - .offset:         78
        .size:           2
        .value_kind:     hidden_group_size_y
      - .offset:         80
        .size:           2
        .value_kind:     hidden_group_size_z
      - .offset:         82
        .size:           2
        .value_kind:     hidden_remainder_x
      - .offset:         84
        .size:           2
        .value_kind:     hidden_remainder_y
      - .offset:         86
        .size:           2
        .value_kind:     hidden_remainder_z
      - .offset:         104
        .size:           8
        .value_kind:     hidden_global_offset_x
      - .offset:         112
        .size:           8
        .value_kind:     hidden_global_offset_y
      - .offset:         120
        .size:           8
        .value_kind:     hidden_global_offset_z
      - .offset:         128
        .size:           2
        .value_kind:     hidden_grid_dims
      - .offset:         184
        .size:           4
        .value_kind:     hidden_dynamic_lds_size
    .group_segment_fixed_size: 0
    .kernarg_segment_align: 8
    .kernarg_segment_size: 320
    .language:       OpenCL C
    .language_version:
      - 2
      - 0
    .max_flat_workgroup_size: 1024
    .name:           _ZN9rocsolver6v33100L19getrf_row_permutateIfiPKPfEEvT0_S5_S5_T1_lS5_S5_lPS5_l
    .private_segment_fixed_size: 0
    .sgpr_count:     15
    .sgpr_spill_count: 0
    .symbol:         _ZN9rocsolver6v33100L19getrf_row_permutateIfiPKPfEEvT0_S5_S5_T1_lS5_S5_lPS5_l.kd
    .uniform_work_group_size: 1
    .uses_dynamic_stack: false
    .vgpr_count:     7
    .vgpr_spill_count: 0
    .wavefront_size: 32
  - .args:
      - .offset:         0
        .size:           4
        .value_kind:     by_value
      - .address_space:  global
        .offset:         8
        .size:           8
        .value_kind:     global_buffer
      - .offset:         16
        .size:           8
        .value_kind:     by_value
      - .offset:         24
        .size:           4
        .value_kind:     by_value
      - .offset:         28
        .size:           4
        .value_kind:     by_value
      - .offset:         32
        .size:           8
        .value_kind:     by_value
      - .offset:         40
        .size:           4
        .value_kind:     by_value
      - .offset:         44
        .size:           4
        .value_kind:     by_value
      - .address_space:  global
        .offset:         48
        .size:           8
        .value_kind:     global_buffer
      - .offset:         56
        .size:           8
        .value_kind:     by_value
      - .offset:         64
        .size:           4
        .value_kind:     by_value
      - .offset:         72
        .size:           8
        .value_kind:     by_value
      - .offset:         80
        .size:           4
        .value_kind:     hidden_block_count_x
      - .offset:         84
        .size:           4
        .value_kind:     hidden_block_count_y
      - .offset:         88
        .size:           4
        .value_kind:     hidden_block_count_z
      - .offset:         92
        .size:           2
        .value_kind:     hidden_group_size_x
      - .offset:         94
        .size:           2
        .value_kind:     hidden_group_size_y
      - .offset:         96
        .size:           2
        .value_kind:     hidden_group_size_z
      - .offset:         98
        .size:           2
        .value_kind:     hidden_remainder_x
      - .offset:         100
        .size:           2
        .value_kind:     hidden_remainder_y
      - .offset:         102
        .size:           2
        .value_kind:     hidden_remainder_z
      - .offset:         120
        .size:           8
        .value_kind:     hidden_global_offset_x
      - .offset:         128
        .size:           8
        .value_kind:     hidden_global_offset_y
      - .offset:         136
        .size:           8
        .value_kind:     hidden_global_offset_z
      - .offset:         144
        .size:           2
        .value_kind:     hidden_grid_dims
    .group_segment_fixed_size: 0
    .kernarg_segment_align: 8
    .kernarg_segment_size: 336
    .language:       OpenCL C
    .language_version:
      - 2
      - 0
    .max_flat_workgroup_size: 1024
    .name:           _ZN9rocsolver6v33100L12laswp_kernelIfiPKPfEEvT0_T1_lS5_S5_lS5_S5_PKS5_lS5_l
    .private_segment_fixed_size: 0
    .sgpr_count:     22
    .sgpr_spill_count: 0
    .symbol:         _ZN9rocsolver6v33100L12laswp_kernelIfiPKPfEEvT0_T1_lS5_S5_lS5_S5_PKS5_lS5_l.kd
    .uniform_work_group_size: 1
    .uses_dynamic_stack: false
    .vgpr_count:     5
    .vgpr_spill_count: 0
    .wavefront_size: 32
  - .args:
      - .address_space:  global
        .offset:         0
        .size:           8
        .value_kind:     global_buffer
      - .address_space:  global
        .offset:         8
        .size:           8
        .value_kind:     global_buffer
      - .offset:         16
        .size:           4
        .value_kind:     by_value
      - .offset:         20
        .size:           4
        .value_kind:     by_value
      - .offset:         24
        .size:           4
        .value_kind:     hidden_block_count_x
      - .offset:         28
        .size:           4
        .value_kind:     hidden_block_count_y
      - .offset:         32
        .size:           4
        .value_kind:     hidden_block_count_z
      - .offset:         36
        .size:           2
        .value_kind:     hidden_group_size_x
      - .offset:         38
        .size:           2
        .value_kind:     hidden_group_size_y
      - .offset:         40
        .size:           2
        .value_kind:     hidden_group_size_z
      - .offset:         42
        .size:           2
        .value_kind:     hidden_remainder_x
      - .offset:         44
        .size:           2
        .value_kind:     hidden_remainder_y
      - .offset:         46
        .size:           2
        .value_kind:     hidden_remainder_z
      - .offset:         64
        .size:           8
        .value_kind:     hidden_global_offset_x
      - .offset:         72
        .size:           8
        .value_kind:     hidden_global_offset_y
      - .offset:         80
        .size:           8
        .value_kind:     hidden_global_offset_z
      - .offset:         88
        .size:           2
        .value_kind:     hidden_grid_dims
    .group_segment_fixed_size: 0
    .kernarg_segment_align: 8
    .kernarg_segment_size: 280
    .language:       OpenCL C
    .language_version:
      - 2
      - 0
    .max_flat_workgroup_size: 1024
    .name:           _ZN9rocsolver6v33100L20geblttrf_update_infoIiEEvPT_S3_ii
    .private_segment_fixed_size: 0
    .sgpr_count:     10
    .sgpr_spill_count: 0
    .symbol:         _ZN9rocsolver6v33100L20geblttrf_update_infoIiEEvPT_S3_ii.kd
    .uniform_work_group_size: 1
    .uses_dynamic_stack: false
    .vgpr_count:     4
    .vgpr_spill_count: 0
    .wavefront_size: 32
  - .args:
      - .address_space:  global
        .offset:         0
        .size:           8
        .value_kind:     global_buffer
      - .offset:         8
        .size:           4
        .value_kind:     by_value
      - .offset:         16
        .size:           8
        .value_kind:     by_value
    .group_segment_fixed_size: 0
    .kernarg_segment_align: 8
    .kernarg_segment_size: 24
    .language:       OpenCL C
    .language_version:
      - 2
      - 0
    .max_flat_workgroup_size: 32
    .name:           _ZN9rocsolver6v33100L6iota_nIdEEvPT_jS2_
    .private_segment_fixed_size: 0
    .sgpr_count:     6
    .sgpr_spill_count: 0
    .symbol:         _ZN9rocsolver6v33100L6iota_nIdEEvPT_jS2_.kd
    .uniform_work_group_size: 1
    .uses_dynamic_stack: false
    .vgpr_count:     4
    .vgpr_spill_count: 0
    .wavefront_size: 32
  - .args:
      - .offset:         0
        .size:           4
        .value_kind:     by_value
      - .address_space:  global
        .offset:         8
        .size:           8
        .value_kind:     global_buffer
      - .offset:         16
        .size:           8
        .value_kind:     by_value
      - .offset:         24
        .size:           4
        .value_kind:     hidden_block_count_x
      - .offset:         28
        .size:           4
        .value_kind:     hidden_block_count_y
      - .offset:         32
        .size:           4
        .value_kind:     hidden_block_count_z
      - .offset:         36
        .size:           2
        .value_kind:     hidden_group_size_x
      - .offset:         38
        .size:           2
        .value_kind:     hidden_group_size_y
      - .offset:         40
        .size:           2
        .value_kind:     hidden_group_size_z
      - .offset:         42
        .size:           2
        .value_kind:     hidden_remainder_x
      - .offset:         44
        .size:           2
        .value_kind:     hidden_remainder_y
      - .offset:         46
        .size:           2
        .value_kind:     hidden_remainder_z
      - .offset:         64
        .size:           8
        .value_kind:     hidden_global_offset_x
      - .offset:         72
        .size:           8
        .value_kind:     hidden_global_offset_y
      - .offset:         80
        .size:           8
        .value_kind:     hidden_global_offset_z
      - .offset:         88
        .size:           2
        .value_kind:     hidden_grid_dims
    .group_segment_fixed_size: 0
    .kernarg_segment_align: 8
    .kernarg_segment_size: 280
    .language:       OpenCL C
    .language_version:
      - 2
      - 0
    .max_flat_workgroup_size: 1024
    .name:           _ZN9rocsolver6v33100L17getf2_permut_initIdiEEvT0_PS2_l
    .private_segment_fixed_size: 0
    .sgpr_count:     8
    .sgpr_spill_count: 0
    .symbol:         _ZN9rocsolver6v33100L17getf2_permut_initIdiEEvT0_PS2_l.kd
    .uniform_work_group_size: 1
    .uses_dynamic_stack: false
    .vgpr_count:     1
    .vgpr_spill_count: 0
    .wavefront_size: 32
  - .args:
      - .offset:         0
        .size:           4
        .value_kind:     by_value
      - .address_space:  global
        .offset:         8
        .size:           8
        .value_kind:     global_buffer
      - .offset:         16
        .size:           8
        .value_kind:     by_value
      - .offset:         24
        .size:           4
        .value_kind:     by_value
      - .offset:         32
        .size:           8
        .value_kind:     by_value
      - .address_space:  global
        .offset:         40
        .size:           8
        .value_kind:     global_buffer
    .group_segment_fixed_size: 12288
    .kernarg_segment_align: 8
    .kernarg_segment_size: 48
    .language:       OpenCL C
    .language_version:
      - 2
      - 0
    .max_flat_workgroup_size: 1024
    .name:           _ZN9rocsolver6v33100L11getf2_iamaxIdiPKPdEEvT0_T1_lS5_lPS5_
    .private_segment_fixed_size: 0
    .sgpr_count:     18
    .sgpr_spill_count: 0
    .symbol:         _ZN9rocsolver6v33100L11getf2_iamaxIdiPKPdEEvT0_T1_lS5_lPS5_.kd
    .uniform_work_group_size: 1
    .uses_dynamic_stack: false
    .vgpr_count:     9
    .vgpr_spill_count: 0
    .wavefront_size: 32
  - .args:
      - .offset:         0
        .size:           4
        .value_kind:     by_value
      - .offset:         4
        .size:           4
        .value_kind:     by_value
      - .address_space:  global
        .offset:         8
        .size:           8
        .value_kind:     global_buffer
      - .offset:         16
        .size:           8
        .value_kind:     by_value
      - .offset:         24
        .size:           4
        .value_kind:     by_value
      - .offset:         28
        .size:           4
        .value_kind:     by_value
      - .offset:         32
        .size:           8
        .value_kind:     by_value
      - .address_space:  global
        .offset:         40
        .size:           8
        .value_kind:     global_buffer
      - .offset:         48
        .size:           8
        .value_kind:     by_value
      - .offset:         56
        .size:           8
        .value_kind:     by_value
      - .address_space:  global
        .offset:         64
        .size:           8
        .value_kind:     global_buffer
      - .address_space:  global
        .offset:         72
        .size:           8
        .value_kind:     global_buffer
      - .address_space:  global
        .offset:         80
        .size:           8
        .value_kind:     global_buffer
      - .offset:         88
        .size:           4
        .value_kind:     by_value
      - .address_space:  global
        .offset:         96
        .size:           8
        .value_kind:     global_buffer
      - .offset:         104
        .size:           8
        .value_kind:     by_value
      - .offset:         112
        .size:           4
        .value_kind:     hidden_block_count_x
      - .offset:         116
        .size:           4
        .value_kind:     hidden_block_count_y
      - .offset:         120
        .size:           4
        .value_kind:     hidden_block_count_z
      - .offset:         124
        .size:           2
        .value_kind:     hidden_group_size_x
      - .offset:         126
        .size:           2
        .value_kind:     hidden_group_size_y
      - .offset:         128
        .size:           2
        .value_kind:     hidden_group_size_z
      - .offset:         130
        .size:           2
        .value_kind:     hidden_remainder_x
      - .offset:         132
        .size:           2
        .value_kind:     hidden_remainder_y
      - .offset:         134
        .size:           2
        .value_kind:     hidden_remainder_z
      - .offset:         152
        .size:           8
        .value_kind:     hidden_global_offset_x
      - .offset:         160
        .size:           8
        .value_kind:     hidden_global_offset_y
      - .offset:         168
        .size:           8
        .value_kind:     hidden_global_offset_z
      - .offset:         176
        .size:           2
        .value_kind:     hidden_grid_dims
    .group_segment_fixed_size: 0
    .kernarg_segment_align: 8
    .kernarg_segment_size: 368
    .language:       OpenCL C
    .language_version:
      - 2
      - 0
    .max_flat_workgroup_size: 1024
    .name:           _ZN9rocsolver6v33100L23getf2_check_singularityIdiiPKPdEEvT0_S5_T2_lS5_S5_lPS5_llPT_S7_PT1_S5_S7_l
    .private_segment_fixed_size: 0
    .sgpr_count:     33
    .sgpr_spill_count: 0
    .symbol:         _ZN9rocsolver6v33100L23getf2_check_singularityIdiiPKPdEEvT0_S5_T2_lS5_S5_lPS5_llPT_S7_PT1_S5_S7_l.kd
    .uniform_work_group_size: 1
    .uses_dynamic_stack: false
    .vgpr_count:     10
    .vgpr_spill_count: 0
    .wavefront_size: 32
  - .args:
      - .offset:         0
        .size:           4
        .value_kind:     by_value
      - .address_space:  global
        .offset:         8
        .size:           8
        .value_kind:     global_buffer
      - .offset:         16
        .size:           8
        .value_kind:     by_value
      - .offset:         24
        .size:           4
        .value_kind:     by_value
      - .offset:         28
        .size:           4
        .value_kind:     by_value
      - .offset:         32
        .size:           8
        .value_kind:     by_value
      - .address_space:  global
        .offset:         40
        .size:           8
        .value_kind:     global_buffer
      - .address_space:  global
        .offset:         48
        .size:           8
        .value_kind:     global_buffer
      - .offset:         56
        .size:           4
        .value_kind:     by_value
    .group_segment_fixed_size: 0
    .kernarg_segment_align: 8
    .kernarg_segment_size: 60
    .language:       OpenCL C
    .language_version:
      - 2
      - 0
    .max_flat_workgroup_size: 1024
    .name:           _ZN9rocsolver6v33100L28getf2_npvt_check_singularityIdiiPKPdEEvT0_T2_lS5_S5_lPT_PT1_S5_
    .private_segment_fixed_size: 0
    .sgpr_count:     22
    .sgpr_spill_count: 0
    .symbol:         _ZN9rocsolver6v33100L28getf2_npvt_check_singularityIdiiPKPdEEvT0_T2_lS5_S5_lPT_PT1_S5_.kd
    .uniform_work_group_size: 1
    .uses_dynamic_stack: false
    .vgpr_count:     10
    .vgpr_spill_count: 0
    .wavefront_size: 32
  - .args:
      - .offset:         0
        .size:           4
        .value_kind:     by_value
      - .offset:         4
        .size:           4
        .value_kind:     by_value
      - .offset:         8
        .size:           4
        .value_kind:     by_value
      - .address_space:  global
        .offset:         16
        .size:           8
        .value_kind:     global_buffer
      - .offset:         24
        .size:           8
        .value_kind:     by_value
      - .offset:         32
        .size:           4
        .value_kind:     by_value
      - .offset:         36
        .size:           4
        .value_kind:     by_value
      - .offset:         40
        .size:           8
        .value_kind:     by_value
      - .address_space:  global
        .offset:         48
        .size:           8
        .value_kind:     global_buffer
      - .offset:         56
        .size:           8
        .value_kind:     by_value
      - .offset:         64
        .size:           4
        .value_kind:     hidden_block_count_x
      - .offset:         68
        .size:           4
        .value_kind:     hidden_block_count_y
      - .offset:         72
        .size:           4
        .value_kind:     hidden_block_count_z
      - .offset:         76
        .size:           2
        .value_kind:     hidden_group_size_x
      - .offset:         78
        .size:           2
        .value_kind:     hidden_group_size_y
      - .offset:         80
        .size:           2
        .value_kind:     hidden_group_size_z
      - .offset:         82
        .size:           2
        .value_kind:     hidden_remainder_x
      - .offset:         84
        .size:           2
        .value_kind:     hidden_remainder_y
      - .offset:         86
        .size:           2
        .value_kind:     hidden_remainder_z
      - .offset:         104
        .size:           8
        .value_kind:     hidden_global_offset_x
      - .offset:         112
        .size:           8
        .value_kind:     hidden_global_offset_y
      - .offset:         120
        .size:           8
        .value_kind:     hidden_global_offset_z
      - .offset:         128
        .size:           2
        .value_kind:     hidden_grid_dims
      - .offset:         184
        .size:           4
        .value_kind:     hidden_dynamic_lds_size
    .group_segment_fixed_size: 0
    .kernarg_segment_align: 8
    .kernarg_segment_size: 320
    .language:       OpenCL C
    .language_version:
      - 2
      - 0
    .max_flat_workgroup_size: 1024
    .name:           _ZN9rocsolver6v33100L19getrf_row_permutateIdiPKPdEEvT0_S5_S5_T1_lS5_S5_lPS5_l
    .private_segment_fixed_size: 0
    .sgpr_count:     15
    .sgpr_spill_count: 0
    .symbol:         _ZN9rocsolver6v33100L19getrf_row_permutateIdiPKPdEEvT0_S5_S5_T1_lS5_S5_lPS5_l.kd
    .uniform_work_group_size: 1
    .uses_dynamic_stack: false
    .vgpr_count:     8
    .vgpr_spill_count: 0
    .wavefront_size: 32
  - .args:
      - .offset:         0
        .size:           4
        .value_kind:     by_value
      - .address_space:  global
        .offset:         8
        .size:           8
        .value_kind:     global_buffer
      - .offset:         16
        .size:           8
        .value_kind:     by_value
      - .offset:         24
        .size:           4
        .value_kind:     by_value
      - .offset:         28
        .size:           4
        .value_kind:     by_value
      - .offset:         32
        .size:           8
        .value_kind:     by_value
      - .offset:         40
        .size:           4
        .value_kind:     by_value
      - .offset:         44
        .size:           4
        .value_kind:     by_value
      - .address_space:  global
        .offset:         48
        .size:           8
        .value_kind:     global_buffer
      - .offset:         56
        .size:           8
        .value_kind:     by_value
      - .offset:         64
        .size:           4
        .value_kind:     by_value
      - .offset:         72
        .size:           8
        .value_kind:     by_value
      - .offset:         80
        .size:           4
        .value_kind:     hidden_block_count_x
      - .offset:         84
        .size:           4
        .value_kind:     hidden_block_count_y
      - .offset:         88
        .size:           4
        .value_kind:     hidden_block_count_z
      - .offset:         92
        .size:           2
        .value_kind:     hidden_group_size_x
      - .offset:         94
        .size:           2
        .value_kind:     hidden_group_size_y
      - .offset:         96
        .size:           2
        .value_kind:     hidden_group_size_z
      - .offset:         98
        .size:           2
        .value_kind:     hidden_remainder_x
      - .offset:         100
        .size:           2
        .value_kind:     hidden_remainder_y
      - .offset:         102
        .size:           2
        .value_kind:     hidden_remainder_z
      - .offset:         120
        .size:           8
        .value_kind:     hidden_global_offset_x
      - .offset:         128
        .size:           8
        .value_kind:     hidden_global_offset_y
      - .offset:         136
        .size:           8
        .value_kind:     hidden_global_offset_z
      - .offset:         144
        .size:           2
        .value_kind:     hidden_grid_dims
    .group_segment_fixed_size: 0
    .kernarg_segment_align: 8
    .kernarg_segment_size: 336
    .language:       OpenCL C
    .language_version:
      - 2
      - 0
    .max_flat_workgroup_size: 1024
    .name:           _ZN9rocsolver6v33100L12laswp_kernelIdiPKPdEEvT0_T1_lS5_S5_lS5_S5_PKS5_lS5_l
    .private_segment_fixed_size: 0
    .sgpr_count:     22
    .sgpr_spill_count: 0
    .symbol:         _ZN9rocsolver6v33100L12laswp_kernelIdiPKPdEEvT0_T1_lS5_S5_lS5_S5_PKS5_lS5_l.kd
    .uniform_work_group_size: 1
    .uses_dynamic_stack: false
    .vgpr_count:     7
    .vgpr_spill_count: 0
    .wavefront_size: 32
  - .args:
      - .address_space:  global
        .offset:         0
        .size:           8
        .value_kind:     global_buffer
      - .offset:         8
        .size:           4
        .value_kind:     by_value
      - .offset:         12
        .size:           8
        .value_kind:     by_value
    .group_segment_fixed_size: 0
    .kernarg_segment_align: 8
    .kernarg_segment_size: 20
    .language:       OpenCL C
    .language_version:
      - 2
      - 0
    .max_flat_workgroup_size: 32
    .name:           _ZN9rocsolver6v33100L6iota_nI19rocblas_complex_numIfEEEvPT_jS4_
    .private_segment_fixed_size: 0
    .sgpr_count:     8
    .sgpr_spill_count: 0
    .symbol:         _ZN9rocsolver6v33100L6iota_nI19rocblas_complex_numIfEEEvPT_jS4_.kd
    .uniform_work_group_size: 1
    .uses_dynamic_stack: false
    .vgpr_count:     6
    .vgpr_spill_count: 0
    .wavefront_size: 32
  - .args:
      - .offset:         0
        .size:           4
        .value_kind:     by_value
      - .address_space:  global
        .offset:         8
        .size:           8
        .value_kind:     global_buffer
      - .offset:         16
        .size:           8
        .value_kind:     by_value
      - .offset:         24
        .size:           4
        .value_kind:     hidden_block_count_x
      - .offset:         28
        .size:           4
        .value_kind:     hidden_block_count_y
      - .offset:         32
        .size:           4
        .value_kind:     hidden_block_count_z
      - .offset:         36
        .size:           2
        .value_kind:     hidden_group_size_x
      - .offset:         38
        .size:           2
        .value_kind:     hidden_group_size_y
      - .offset:         40
        .size:           2
        .value_kind:     hidden_group_size_z
      - .offset:         42
        .size:           2
        .value_kind:     hidden_remainder_x
      - .offset:         44
        .size:           2
        .value_kind:     hidden_remainder_y
      - .offset:         46
        .size:           2
        .value_kind:     hidden_remainder_z
      - .offset:         64
        .size:           8
        .value_kind:     hidden_global_offset_x
      - .offset:         72
        .size:           8
        .value_kind:     hidden_global_offset_y
      - .offset:         80
        .size:           8
        .value_kind:     hidden_global_offset_z
      - .offset:         88
        .size:           2
        .value_kind:     hidden_grid_dims
    .group_segment_fixed_size: 0
    .kernarg_segment_align: 8
    .kernarg_segment_size: 280
    .language:       OpenCL C
    .language_version:
      - 2
      - 0
    .max_flat_workgroup_size: 1024
    .name:           _ZN9rocsolver6v33100L17getf2_permut_initI19rocblas_complex_numIfEiEEvT0_PS4_l
    .private_segment_fixed_size: 0
    .sgpr_count:     8
    .sgpr_spill_count: 0
    .symbol:         _ZN9rocsolver6v33100L17getf2_permut_initI19rocblas_complex_numIfEiEEvT0_PS4_l.kd
    .uniform_work_group_size: 1
    .uses_dynamic_stack: false
    .vgpr_count:     1
    .vgpr_spill_count: 0
    .wavefront_size: 32
  - .args:
      - .offset:         0
        .size:           4
        .value_kind:     by_value
      - .address_space:  global
        .offset:         8
        .size:           8
        .value_kind:     global_buffer
      - .offset:         16
        .size:           8
        .value_kind:     by_value
      - .offset:         24
        .size:           4
        .value_kind:     by_value
      - .offset:         32
        .size:           8
        .value_kind:     by_value
      - .address_space:  global
        .offset:         40
        .size:           8
        .value_kind:     global_buffer
    .group_segment_fixed_size: 8192
    .kernarg_segment_align: 8
    .kernarg_segment_size: 48
    .language:       OpenCL C
    .language_version:
      - 2
      - 0
    .max_flat_workgroup_size: 1024
    .name:           _ZN9rocsolver6v33100L11getf2_iamaxI19rocblas_complex_numIfEiPKPS3_EEvT0_T1_lS7_lPS7_
    .private_segment_fixed_size: 0
    .sgpr_count:     18
    .sgpr_spill_count: 0
    .symbol:         _ZN9rocsolver6v33100L11getf2_iamaxI19rocblas_complex_numIfEiPKPS3_EEvT0_T1_lS7_lPS7_.kd
    .uniform_work_group_size: 1
    .uses_dynamic_stack: false
    .vgpr_count:     8
    .vgpr_spill_count: 0
    .wavefront_size: 32
  - .args:
      - .offset:         0
        .size:           4
        .value_kind:     by_value
      - .offset:         4
        .size:           4
        .value_kind:     by_value
      - .address_space:  global
        .offset:         8
        .size:           8
        .value_kind:     global_buffer
      - .offset:         16
        .size:           8
        .value_kind:     by_value
      - .offset:         24
        .size:           4
        .value_kind:     by_value
      - .offset:         28
        .size:           4
        .value_kind:     by_value
      - .offset:         32
        .size:           8
        .value_kind:     by_value
      - .address_space:  global
        .offset:         40
        .size:           8
        .value_kind:     global_buffer
      - .offset:         48
        .size:           8
        .value_kind:     by_value
      - .offset:         56
        .size:           8
        .value_kind:     by_value
      - .address_space:  global
        .offset:         64
        .size:           8
        .value_kind:     global_buffer
      - .address_space:  global
        .offset:         72
        .size:           8
        .value_kind:     global_buffer
      - .address_space:  global
        .offset:         80
        .size:           8
        .value_kind:     global_buffer
      - .offset:         88
        .size:           4
        .value_kind:     by_value
      - .address_space:  global
        .offset:         96
        .size:           8
        .value_kind:     global_buffer
      - .offset:         104
        .size:           8
        .value_kind:     by_value
      - .offset:         112
        .size:           4
        .value_kind:     hidden_block_count_x
      - .offset:         116
        .size:           4
        .value_kind:     hidden_block_count_y
      - .offset:         120
        .size:           4
        .value_kind:     hidden_block_count_z
      - .offset:         124
        .size:           2
        .value_kind:     hidden_group_size_x
      - .offset:         126
        .size:           2
        .value_kind:     hidden_group_size_y
      - .offset:         128
        .size:           2
        .value_kind:     hidden_group_size_z
      - .offset:         130
        .size:           2
        .value_kind:     hidden_remainder_x
      - .offset:         132
        .size:           2
        .value_kind:     hidden_remainder_y
      - .offset:         134
        .size:           2
        .value_kind:     hidden_remainder_z
      - .offset:         152
        .size:           8
        .value_kind:     hidden_global_offset_x
      - .offset:         160
        .size:           8
        .value_kind:     hidden_global_offset_y
      - .offset:         168
        .size:           8
        .value_kind:     hidden_global_offset_z
      - .offset:         176
        .size:           2
        .value_kind:     hidden_grid_dims
    .group_segment_fixed_size: 0
    .kernarg_segment_align: 8
    .kernarg_segment_size: 368
    .language:       OpenCL C
    .language_version:
      - 2
      - 0
    .max_flat_workgroup_size: 1024
    .name:           _ZN9rocsolver6v33100L23getf2_check_singularityI19rocblas_complex_numIfEiiPKPS3_EEvT0_S7_T2_lS7_S7_lPS7_llPT_S9_PT1_S7_S9_l
    .private_segment_fixed_size: 0
    .sgpr_count:     33
    .sgpr_spill_count: 0
    .symbol:         _ZN9rocsolver6v33100L23getf2_check_singularityI19rocblas_complex_numIfEiiPKPS3_EEvT0_S7_T2_lS7_S7_lPS7_llPT_S9_PT1_S7_S9_l.kd
    .uniform_work_group_size: 1
    .uses_dynamic_stack: false
    .vgpr_count:     7
    .vgpr_spill_count: 0
    .wavefront_size: 32
  - .args:
      - .offset:         0
        .size:           4
        .value_kind:     by_value
      - .address_space:  global
        .offset:         8
        .size:           8
        .value_kind:     global_buffer
      - .offset:         16
        .size:           8
        .value_kind:     by_value
      - .offset:         24
        .size:           4
        .value_kind:     by_value
      - .offset:         28
        .size:           4
        .value_kind:     by_value
      - .offset:         32
        .size:           8
        .value_kind:     by_value
      - .address_space:  global
        .offset:         40
        .size:           8
        .value_kind:     global_buffer
      - .address_space:  global
        .offset:         48
        .size:           8
        .value_kind:     global_buffer
      - .offset:         56
        .size:           4
        .value_kind:     by_value
    .group_segment_fixed_size: 0
    .kernarg_segment_align: 8
    .kernarg_segment_size: 60
    .language:       OpenCL C
    .language_version:
      - 2
      - 0
    .max_flat_workgroup_size: 1024
    .name:           _ZN9rocsolver6v33100L28getf2_npvt_check_singularityI19rocblas_complex_numIfEiiPKPS3_EEvT0_T2_lS7_S7_lPT_PT1_S7_
    .private_segment_fixed_size: 0
    .sgpr_count:     22
    .sgpr_spill_count: 0
    .symbol:         _ZN9rocsolver6v33100L28getf2_npvt_check_singularityI19rocblas_complex_numIfEiiPKPS3_EEvT0_T2_lS7_S7_lPT_PT1_S7_.kd
    .uniform_work_group_size: 1
    .uses_dynamic_stack: false
    .vgpr_count:     7
    .vgpr_spill_count: 0
    .wavefront_size: 32
  - .args:
      - .offset:         0
        .size:           4
        .value_kind:     by_value
      - .offset:         4
        .size:           4
        .value_kind:     by_value
      - .offset:         8
        .size:           4
        .value_kind:     by_value
      - .address_space:  global
        .offset:         16
        .size:           8
        .value_kind:     global_buffer
      - .offset:         24
        .size:           8
        .value_kind:     by_value
      - .offset:         32
        .size:           4
        .value_kind:     by_value
      - .offset:         36
        .size:           4
        .value_kind:     by_value
      - .offset:         40
        .size:           8
        .value_kind:     by_value
      - .address_space:  global
        .offset:         48
        .size:           8
        .value_kind:     global_buffer
      - .offset:         56
        .size:           8
        .value_kind:     by_value
      - .offset:         64
        .size:           4
        .value_kind:     hidden_block_count_x
      - .offset:         68
        .size:           4
        .value_kind:     hidden_block_count_y
      - .offset:         72
        .size:           4
        .value_kind:     hidden_block_count_z
      - .offset:         76
        .size:           2
        .value_kind:     hidden_group_size_x
      - .offset:         78
        .size:           2
        .value_kind:     hidden_group_size_y
      - .offset:         80
        .size:           2
        .value_kind:     hidden_group_size_z
      - .offset:         82
        .size:           2
        .value_kind:     hidden_remainder_x
      - .offset:         84
        .size:           2
        .value_kind:     hidden_remainder_y
      - .offset:         86
        .size:           2
        .value_kind:     hidden_remainder_z
      - .offset:         104
        .size:           8
        .value_kind:     hidden_global_offset_x
      - .offset:         112
        .size:           8
        .value_kind:     hidden_global_offset_y
      - .offset:         120
        .size:           8
        .value_kind:     hidden_global_offset_z
      - .offset:         128
        .size:           2
        .value_kind:     hidden_grid_dims
      - .offset:         184
        .size:           4
        .value_kind:     hidden_dynamic_lds_size
    .group_segment_fixed_size: 0
    .kernarg_segment_align: 8
    .kernarg_segment_size: 320
    .language:       OpenCL C
    .language_version:
      - 2
      - 0
    .max_flat_workgroup_size: 1024
    .name:           _ZN9rocsolver6v33100L19getrf_row_permutateI19rocblas_complex_numIfEiPKPS3_EEvT0_S7_S7_T1_lS7_S7_lPS7_l
    .private_segment_fixed_size: 0
    .sgpr_count:     15
    .sgpr_spill_count: 0
    .symbol:         _ZN9rocsolver6v33100L19getrf_row_permutateI19rocblas_complex_numIfEiPKPS3_EEvT0_S7_S7_T1_lS7_S7_lPS7_l.kd
    .uniform_work_group_size: 1
    .uses_dynamic_stack: false
    .vgpr_count:     8
    .vgpr_spill_count: 0
    .wavefront_size: 32
  - .args:
      - .offset:         0
        .size:           4
        .value_kind:     by_value
      - .address_space:  global
        .offset:         8
        .size:           8
        .value_kind:     global_buffer
      - .offset:         16
        .size:           8
        .value_kind:     by_value
      - .offset:         24
        .size:           4
        .value_kind:     by_value
      - .offset:         28
        .size:           4
        .value_kind:     by_value
      - .offset:         32
        .size:           8
        .value_kind:     by_value
      - .offset:         40
        .size:           4
        .value_kind:     by_value
      - .offset:         44
        .size:           4
        .value_kind:     by_value
      - .address_space:  global
        .offset:         48
        .size:           8
        .value_kind:     global_buffer
      - .offset:         56
        .size:           8
        .value_kind:     by_value
      - .offset:         64
        .size:           4
        .value_kind:     by_value
      - .offset:         72
        .size:           8
        .value_kind:     by_value
      - .offset:         80
        .size:           4
        .value_kind:     hidden_block_count_x
      - .offset:         84
        .size:           4
        .value_kind:     hidden_block_count_y
      - .offset:         88
        .size:           4
        .value_kind:     hidden_block_count_z
      - .offset:         92
        .size:           2
        .value_kind:     hidden_group_size_x
      - .offset:         94
        .size:           2
        .value_kind:     hidden_group_size_y
      - .offset:         96
        .size:           2
        .value_kind:     hidden_group_size_z
      - .offset:         98
        .size:           2
        .value_kind:     hidden_remainder_x
      - .offset:         100
        .size:           2
        .value_kind:     hidden_remainder_y
      - .offset:         102
        .size:           2
        .value_kind:     hidden_remainder_z
      - .offset:         120
        .size:           8
        .value_kind:     hidden_global_offset_x
      - .offset:         128
        .size:           8
        .value_kind:     hidden_global_offset_y
      - .offset:         136
        .size:           8
        .value_kind:     hidden_global_offset_z
      - .offset:         144
        .size:           2
        .value_kind:     hidden_grid_dims
    .group_segment_fixed_size: 0
    .kernarg_segment_align: 8
    .kernarg_segment_size: 336
    .language:       OpenCL C
    .language_version:
      - 2
      - 0
    .max_flat_workgroup_size: 1024
    .name:           _ZN9rocsolver6v33100L12laswp_kernelI19rocblas_complex_numIfEiPKPS3_EEvT0_T1_lS7_S7_lS7_S7_PKS7_lS7_l
    .private_segment_fixed_size: 0
    .sgpr_count:     24
    .sgpr_spill_count: 0
    .symbol:         _ZN9rocsolver6v33100L12laswp_kernelI19rocblas_complex_numIfEiPKPS3_EEvT0_T1_lS7_S7_lS7_S7_PKS7_lS7_l.kd
    .uniform_work_group_size: 1
    .uses_dynamic_stack: false
    .vgpr_count:     7
    .vgpr_spill_count: 0
    .wavefront_size: 32
  - .args:
      - .address_space:  global
        .offset:         0
        .size:           8
        .value_kind:     global_buffer
      - .offset:         8
        .size:           4
        .value_kind:     by_value
      - .offset:         16
        .size:           16
        .value_kind:     by_value
    .group_segment_fixed_size: 0
    .kernarg_segment_align: 8
    .kernarg_segment_size: 32
    .language:       OpenCL C
    .language_version:
      - 2
      - 0
    .max_flat_workgroup_size: 32
    .name:           _ZN9rocsolver6v33100L6iota_nI19rocblas_complex_numIdEEEvPT_jS4_
    .private_segment_fixed_size: 0
    .sgpr_count:     10
    .sgpr_spill_count: 0
    .symbol:         _ZN9rocsolver6v33100L6iota_nI19rocblas_complex_numIdEEEvPT_jS4_.kd
    .uniform_work_group_size: 1
    .uses_dynamic_stack: false
    .vgpr_count:     6
    .vgpr_spill_count: 0
    .wavefront_size: 32
  - .args:
      - .offset:         0
        .size:           4
        .value_kind:     by_value
      - .address_space:  global
        .offset:         8
        .size:           8
        .value_kind:     global_buffer
      - .offset:         16
        .size:           8
        .value_kind:     by_value
      - .offset:         24
        .size:           4
        .value_kind:     hidden_block_count_x
      - .offset:         28
        .size:           4
        .value_kind:     hidden_block_count_y
      - .offset:         32
        .size:           4
        .value_kind:     hidden_block_count_z
      - .offset:         36
        .size:           2
        .value_kind:     hidden_group_size_x
      - .offset:         38
        .size:           2
        .value_kind:     hidden_group_size_y
      - .offset:         40
        .size:           2
        .value_kind:     hidden_group_size_z
      - .offset:         42
        .size:           2
        .value_kind:     hidden_remainder_x
      - .offset:         44
        .size:           2
        .value_kind:     hidden_remainder_y
      - .offset:         46
        .size:           2
        .value_kind:     hidden_remainder_z
      - .offset:         64
        .size:           8
        .value_kind:     hidden_global_offset_x
      - .offset:         72
        .size:           8
        .value_kind:     hidden_global_offset_y
      - .offset:         80
        .size:           8
        .value_kind:     hidden_global_offset_z
      - .offset:         88
        .size:           2
        .value_kind:     hidden_grid_dims
    .group_segment_fixed_size: 0
    .kernarg_segment_align: 8
    .kernarg_segment_size: 280
    .language:       OpenCL C
    .language_version:
      - 2
      - 0
    .max_flat_workgroup_size: 1024
    .name:           _ZN9rocsolver6v33100L17getf2_permut_initI19rocblas_complex_numIdEiEEvT0_PS4_l
    .private_segment_fixed_size: 0
    .sgpr_count:     8
    .sgpr_spill_count: 0
    .symbol:         _ZN9rocsolver6v33100L17getf2_permut_initI19rocblas_complex_numIdEiEEvT0_PS4_l.kd
    .uniform_work_group_size: 1
    .uses_dynamic_stack: false
    .vgpr_count:     1
    .vgpr_spill_count: 0
    .wavefront_size: 32
  - .args:
      - .offset:         0
        .size:           4
        .value_kind:     by_value
      - .address_space:  global
        .offset:         8
        .size:           8
        .value_kind:     global_buffer
      - .offset:         16
        .size:           8
        .value_kind:     by_value
      - .offset:         24
        .size:           4
        .value_kind:     by_value
      - .offset:         32
        .size:           8
        .value_kind:     by_value
      - .address_space:  global
        .offset:         40
        .size:           8
        .value_kind:     global_buffer
    .group_segment_fixed_size: 12288
    .kernarg_segment_align: 8
    .kernarg_segment_size: 48
    .language:       OpenCL C
    .language_version:
      - 2
      - 0
    .max_flat_workgroup_size: 1024
    .name:           _ZN9rocsolver6v33100L11getf2_iamaxI19rocblas_complex_numIdEiPKPS3_EEvT0_T1_lS7_lPS7_
    .private_segment_fixed_size: 0
    .sgpr_count:     18
    .sgpr_spill_count: 0
    .symbol:         _ZN9rocsolver6v33100L11getf2_iamaxI19rocblas_complex_numIdEiPKPS3_EEvT0_T1_lS7_lPS7_.kd
    .uniform_work_group_size: 1
    .uses_dynamic_stack: false
    .vgpr_count:     12
    .vgpr_spill_count: 0
    .wavefront_size: 32
  - .args:
      - .offset:         0
        .size:           4
        .value_kind:     by_value
      - .offset:         4
        .size:           4
        .value_kind:     by_value
      - .address_space:  global
        .offset:         8
        .size:           8
        .value_kind:     global_buffer
      - .offset:         16
        .size:           8
        .value_kind:     by_value
      - .offset:         24
        .size:           4
        .value_kind:     by_value
      - .offset:         28
        .size:           4
        .value_kind:     by_value
      - .offset:         32
        .size:           8
        .value_kind:     by_value
      - .address_space:  global
        .offset:         40
        .size:           8
        .value_kind:     global_buffer
      - .offset:         48
        .size:           8
        .value_kind:     by_value
      - .offset:         56
        .size:           8
        .value_kind:     by_value
      - .address_space:  global
        .offset:         64
        .size:           8
        .value_kind:     global_buffer
      - .address_space:  global
        .offset:         72
        .size:           8
        .value_kind:     global_buffer
      - .address_space:  global
        .offset:         80
        .size:           8
        .value_kind:     global_buffer
      - .offset:         88
        .size:           4
        .value_kind:     by_value
      - .address_space:  global
        .offset:         96
        .size:           8
        .value_kind:     global_buffer
      - .offset:         104
        .size:           8
        .value_kind:     by_value
      - .offset:         112
        .size:           4
        .value_kind:     hidden_block_count_x
      - .offset:         116
        .size:           4
        .value_kind:     hidden_block_count_y
      - .offset:         120
        .size:           4
        .value_kind:     hidden_block_count_z
      - .offset:         124
        .size:           2
        .value_kind:     hidden_group_size_x
      - .offset:         126
        .size:           2
        .value_kind:     hidden_group_size_y
      - .offset:         128
        .size:           2
        .value_kind:     hidden_group_size_z
      - .offset:         130
        .size:           2
        .value_kind:     hidden_remainder_x
      - .offset:         132
        .size:           2
        .value_kind:     hidden_remainder_y
      - .offset:         134
        .size:           2
        .value_kind:     hidden_remainder_z
      - .offset:         152
        .size:           8
        .value_kind:     hidden_global_offset_x
      - .offset:         160
        .size:           8
        .value_kind:     hidden_global_offset_y
      - .offset:         168
        .size:           8
        .value_kind:     hidden_global_offset_z
      - .offset:         176
        .size:           2
        .value_kind:     hidden_grid_dims
    .group_segment_fixed_size: 16384
    .kernarg_segment_align: 8
    .kernarg_segment_size: 368
    .language:       OpenCL C
    .language_version:
      - 2
      - 0
    .max_flat_workgroup_size: 1024
    .name:           _ZN9rocsolver6v33100L23getf2_check_singularityI19rocblas_complex_numIdEiiPKPS3_EEvT0_S7_T2_lS7_S7_lPS7_llPT_S9_PT1_S7_S9_l
    .private_segment_fixed_size: 0
    .sgpr_count:     33
    .sgpr_spill_count: 0
    .symbol:         _ZN9rocsolver6v33100L23getf2_check_singularityI19rocblas_complex_numIdEiiPKPS3_EEvT0_S7_T2_lS7_S7_lPS7_llPT_S9_PT1_S7_S9_l.kd
    .uniform_work_group_size: 1
    .uses_dynamic_stack: false
    .vgpr_count:     12
    .vgpr_spill_count: 0
    .wavefront_size: 32
  - .args:
      - .offset:         0
        .size:           4
        .value_kind:     by_value
      - .address_space:  global
        .offset:         8
        .size:           8
        .value_kind:     global_buffer
      - .offset:         16
        .size:           8
        .value_kind:     by_value
      - .offset:         24
        .size:           4
        .value_kind:     by_value
      - .offset:         28
        .size:           4
        .value_kind:     by_value
      - .offset:         32
        .size:           8
        .value_kind:     by_value
      - .address_space:  global
        .offset:         40
        .size:           8
        .value_kind:     global_buffer
      - .address_space:  global
        .offset:         48
        .size:           8
        .value_kind:     global_buffer
      - .offset:         56
        .size:           4
        .value_kind:     by_value
    .group_segment_fixed_size: 0
    .kernarg_segment_align: 8
    .kernarg_segment_size: 60
    .language:       OpenCL C
    .language_version:
      - 2
      - 0
    .max_flat_workgroup_size: 1024
    .name:           _ZN9rocsolver6v33100L28getf2_npvt_check_singularityI19rocblas_complex_numIdEiiPKPS3_EEvT0_T2_lS7_S7_lPT_PT1_S7_
    .private_segment_fixed_size: 0
    .sgpr_count:     20
    .sgpr_spill_count: 0
    .symbol:         _ZN9rocsolver6v33100L28getf2_npvt_check_singularityI19rocblas_complex_numIdEiiPKPS3_EEvT0_T2_lS7_S7_lPT_PT1_S7_.kd
    .uniform_work_group_size: 1
    .uses_dynamic_stack: false
    .vgpr_count:     12
    .vgpr_spill_count: 0
    .wavefront_size: 32
  - .args:
      - .offset:         0
        .size:           4
        .value_kind:     by_value
      - .offset:         4
        .size:           4
        .value_kind:     by_value
      - .offset:         8
        .size:           4
        .value_kind:     by_value
      - .address_space:  global
        .offset:         16
        .size:           8
        .value_kind:     global_buffer
      - .offset:         24
        .size:           8
        .value_kind:     by_value
      - .offset:         32
        .size:           4
        .value_kind:     by_value
      - .offset:         36
        .size:           4
        .value_kind:     by_value
      - .offset:         40
        .size:           8
        .value_kind:     by_value
      - .address_space:  global
        .offset:         48
        .size:           8
        .value_kind:     global_buffer
      - .offset:         56
        .size:           8
        .value_kind:     by_value
      - .offset:         64
        .size:           4
        .value_kind:     hidden_block_count_x
      - .offset:         68
        .size:           4
        .value_kind:     hidden_block_count_y
      - .offset:         72
        .size:           4
        .value_kind:     hidden_block_count_z
      - .offset:         76
        .size:           2
        .value_kind:     hidden_group_size_x
      - .offset:         78
        .size:           2
        .value_kind:     hidden_group_size_y
      - .offset:         80
        .size:           2
        .value_kind:     hidden_group_size_z
      - .offset:         82
        .size:           2
        .value_kind:     hidden_remainder_x
      - .offset:         84
        .size:           2
        .value_kind:     hidden_remainder_y
      - .offset:         86
        .size:           2
        .value_kind:     hidden_remainder_z
      - .offset:         104
        .size:           8
        .value_kind:     hidden_global_offset_x
      - .offset:         112
        .size:           8
        .value_kind:     hidden_global_offset_y
      - .offset:         120
        .size:           8
        .value_kind:     hidden_global_offset_z
      - .offset:         128
        .size:           2
        .value_kind:     hidden_grid_dims
      - .offset:         184
        .size:           4
        .value_kind:     hidden_dynamic_lds_size
    .group_segment_fixed_size: 0
    .kernarg_segment_align: 8
    .kernarg_segment_size: 320
    .language:       OpenCL C
    .language_version:
      - 2
      - 0
    .max_flat_workgroup_size: 1024
    .name:           _ZN9rocsolver6v33100L19getrf_row_permutateI19rocblas_complex_numIdEiPKPS3_EEvT0_S7_S7_T1_lS7_S7_lPS7_l
    .private_segment_fixed_size: 0
    .sgpr_count:     15
    .sgpr_spill_count: 0
    .symbol:         _ZN9rocsolver6v33100L19getrf_row_permutateI19rocblas_complex_numIdEiPKPS3_EEvT0_S7_S7_T1_lS7_S7_lPS7_l.kd
    .uniform_work_group_size: 1
    .uses_dynamic_stack: false
    .vgpr_count:     10
    .vgpr_spill_count: 0
    .wavefront_size: 32
  - .args:
      - .offset:         0
        .size:           4
        .value_kind:     by_value
      - .address_space:  global
        .offset:         8
        .size:           8
        .value_kind:     global_buffer
      - .offset:         16
        .size:           8
        .value_kind:     by_value
      - .offset:         24
        .size:           4
        .value_kind:     by_value
      - .offset:         28
        .size:           4
        .value_kind:     by_value
      - .offset:         32
        .size:           8
        .value_kind:     by_value
      - .offset:         40
        .size:           4
        .value_kind:     by_value
      - .offset:         44
        .size:           4
        .value_kind:     by_value
      - .address_space:  global
        .offset:         48
        .size:           8
        .value_kind:     global_buffer
      - .offset:         56
        .size:           8
        .value_kind:     by_value
      - .offset:         64
        .size:           4
        .value_kind:     by_value
      - .offset:         72
        .size:           8
        .value_kind:     by_value
      - .offset:         80
        .size:           4
        .value_kind:     hidden_block_count_x
      - .offset:         84
        .size:           4
        .value_kind:     hidden_block_count_y
      - .offset:         88
        .size:           4
        .value_kind:     hidden_block_count_z
      - .offset:         92
        .size:           2
        .value_kind:     hidden_group_size_x
      - .offset:         94
        .size:           2
        .value_kind:     hidden_group_size_y
      - .offset:         96
        .size:           2
        .value_kind:     hidden_group_size_z
      - .offset:         98
        .size:           2
        .value_kind:     hidden_remainder_x
      - .offset:         100
        .size:           2
        .value_kind:     hidden_remainder_y
      - .offset:         102
        .size:           2
        .value_kind:     hidden_remainder_z
      - .offset:         120
        .size:           8
        .value_kind:     hidden_global_offset_x
      - .offset:         128
        .size:           8
        .value_kind:     hidden_global_offset_y
      - .offset:         136
        .size:           8
        .value_kind:     hidden_global_offset_z
      - .offset:         144
        .size:           2
        .value_kind:     hidden_grid_dims
    .group_segment_fixed_size: 16384
    .kernarg_segment_align: 8
    .kernarg_segment_size: 336
    .language:       OpenCL C
    .language_version:
      - 2
      - 0
    .max_flat_workgroup_size: 1024
    .name:           _ZN9rocsolver6v33100L12laswp_kernelI19rocblas_complex_numIdEiPKPS3_EEvT0_T1_lS7_S7_lS7_S7_PKS7_lS7_l
    .private_segment_fixed_size: 0
    .sgpr_count:     28
    .sgpr_spill_count: 0
    .symbol:         _ZN9rocsolver6v33100L12laswp_kernelI19rocblas_complex_numIdEiPKPS3_EEvT0_T1_lS7_S7_lS7_S7_PKS7_lS7_l.kd
    .uniform_work_group_size: 1
    .uses_dynamic_stack: false
    .vgpr_count:     8
    .vgpr_spill_count: 0
    .wavefront_size: 32
amdhsa.target:   amdgcn-amd-amdhsa--gfx1250
amdhsa.version:
  - 1
  - 2
...

	.end_amdgpu_metadata
